;; amdgpu-corpus repo=zjin-lcf/HeCBench kind=compiled arch=gfx942 opt=O3
	.text
	.amdgcn_target "amdgcn-amd-amdhsa--gfx942"
	.amdhsa_code_object_version 6
	.protected	_Z20kernelUpdateParticlePfS_PKfS1_iff ; -- Begin function _Z20kernelUpdateParticlePfS_PKfS1_iff
	.globl	_Z20kernelUpdateParticlePfS_PKfS1_iff
	.p2align	8
	.type	_Z20kernelUpdateParticlePfS_PKfS1_iff,@function
_Z20kernelUpdateParticlePfS_PKfS1_iff:  ; @_Z20kernelUpdateParticlePfS_PKfS1_iff
; %bb.0:
	s_load_dword s3, s[0:1], 0x3c
	s_load_dwordx4 s[4:7], s[0:1], 0x20
	s_waitcnt lgkmcnt(0)
	s_and_b32 s3, s3, 0xffff
	s_mul_i32 s2, s2, s3
	v_add_u32_e32 v0, s2, v0
	s_mul_i32 s2, s4, 30
	v_cmp_gt_i32_e32 vcc, s2, v0
	s_and_saveexec_b64 s[2:3], vcc
	s_cbranch_execz .LBB0_2
; %bb.1:
	s_load_dwordx8 s[8:15], s[0:1], 0x0
	v_ashrrev_i32_e32 v1, 31, v0
	s_mov_b32 s0, 0x88888889
	v_lshlrev_b64 v[2:3], 2, v[0:1]
	v_mul_hi_i32 v1, v0, s0
	s_waitcnt lgkmcnt(0)
	v_lshl_add_u64 v[4:5], s[12:13], 0, v[2:3]
	v_add_u32_e32 v1, v1, v0
	v_lshl_add_u64 v[6:7], s[8:9], 0, v[2:3]
	global_load_dword v8, v[4:5], off
	global_load_dword v10, v[6:7], off
	v_lshrrev_b32_e32 v4, 31, v1
	v_ashrrev_i32_e32 v1, 4, v1
	v_add_u32_e32 v1, v1, v4
	v_mul_lo_u32 v1, v1, 30
	v_sub_u32_e32 v0, v0, v1
	v_ashrrev_i32_e32 v1, 31, v0
	v_lshl_add_u64 v[0:1], v[0:1], 2, s[14:15]
	global_load_dword v9, v[0:1], off
	v_lshl_add_u64 v[0:1], s[10:11], 0, v[2:3]
	global_load_dword v11, v[0:1], off
	s_mov_b32 s0, s5
	s_mov_b32 s1, s6
	v_mov_b32_e32 v2, 0x3fc00000
	v_pk_mul_f32 v[2:3], s[0:1], v[2:3] op_sel_hi:[1,0]
	s_waitcnt vmcnt(0)
	v_pk_add_f32 v[4:5], v[8:9], v[10:11] op_sel_hi:[1,0] neg_lo:[0,1] neg_hi:[0,1]
	s_nop 0
	v_pk_mul_f32 v[2:3], v[2:3], v[4:5]
	s_nop 0
	v_fma_f32 v2, 0.5, v11, v2
	v_add_f32_e32 v2, v2, v3
	global_store_dword v[0:1], v2, off
	v_add_f32_e32 v0, v10, v2
	global_store_dword v[6:7], v0, off
.LBB0_2:
	s_endpgm
	.section	.rodata,"a",@progbits
	.p2align	6, 0x0
	.amdhsa_kernel _Z20kernelUpdateParticlePfS_PKfS1_iff
		.amdhsa_group_segment_fixed_size 0
		.amdhsa_private_segment_fixed_size 0
		.amdhsa_kernarg_size 304
		.amdhsa_user_sgpr_count 2
		.amdhsa_user_sgpr_dispatch_ptr 0
		.amdhsa_user_sgpr_queue_ptr 0
		.amdhsa_user_sgpr_kernarg_segment_ptr 1
		.amdhsa_user_sgpr_dispatch_id 0
		.amdhsa_user_sgpr_kernarg_preload_length 0
		.amdhsa_user_sgpr_kernarg_preload_offset 0
		.amdhsa_user_sgpr_private_segment_size 0
		.amdhsa_uses_dynamic_stack 0
		.amdhsa_enable_private_segment 0
		.amdhsa_system_sgpr_workgroup_id_x 1
		.amdhsa_system_sgpr_workgroup_id_y 0
		.amdhsa_system_sgpr_workgroup_id_z 0
		.amdhsa_system_sgpr_workgroup_info 0
		.amdhsa_system_vgpr_workitem_id 0
		.amdhsa_next_free_vgpr 12
		.amdhsa_next_free_sgpr 16
		.amdhsa_accum_offset 12
		.amdhsa_reserve_vcc 1
		.amdhsa_float_round_mode_32 0
		.amdhsa_float_round_mode_16_64 0
		.amdhsa_float_denorm_mode_32 3
		.amdhsa_float_denorm_mode_16_64 3
		.amdhsa_dx10_clamp 1
		.amdhsa_ieee_mode 1
		.amdhsa_fp16_overflow 0
		.amdhsa_tg_split 0
		.amdhsa_exception_fp_ieee_invalid_op 0
		.amdhsa_exception_fp_denorm_src 0
		.amdhsa_exception_fp_ieee_div_zero 0
		.amdhsa_exception_fp_ieee_overflow 0
		.amdhsa_exception_fp_ieee_underflow 0
		.amdhsa_exception_fp_ieee_inexact 0
		.amdhsa_exception_int_div_zero 0
	.end_amdhsa_kernel
	.text
.Lfunc_end0:
	.size	_Z20kernelUpdateParticlePfS_PKfS1_iff, .Lfunc_end0-_Z20kernelUpdateParticlePfS_PKfS1_iff
                                        ; -- End function
	.section	.AMDGPU.csdata,"",@progbits
; Kernel info:
; codeLenInByte = 276
; NumSgprs: 22
; NumVgprs: 12
; NumAgprs: 0
; TotalNumVgprs: 12
; ScratchSize: 0
; MemoryBound: 0
; FloatMode: 240
; IeeeMode: 1
; LDSByteSize: 0 bytes/workgroup (compile time only)
; SGPRBlocks: 2
; VGPRBlocks: 1
; NumSGPRsForWavesPerEU: 22
; NumVGPRsForWavesPerEU: 12
; AccumOffset: 12
; Occupancy: 8
; WaveLimiterHint : 0
; COMPUTE_PGM_RSRC2:SCRATCH_EN: 0
; COMPUTE_PGM_RSRC2:USER_SGPR: 2
; COMPUTE_PGM_RSRC2:TRAP_HANDLER: 0
; COMPUTE_PGM_RSRC2:TGID_X_EN: 1
; COMPUTE_PGM_RSRC2:TGID_Y_EN: 0
; COMPUTE_PGM_RSRC2:TGID_Z_EN: 0
; COMPUTE_PGM_RSRC2:TIDIG_COMP_CNT: 0
; COMPUTE_PGM_RSRC3_GFX90A:ACCUM_OFFSET: 2
; COMPUTE_PGM_RSRC3_GFX90A:TG_SPLIT: 0
	.text
	.protected	_Z17kernelUpdatePBestPKfPfS1_i ; -- Begin function _Z17kernelUpdatePBestPKfPfS1_i
	.globl	_Z17kernelUpdatePBestPKfPfS1_i
	.p2align	8
	.type	_Z17kernelUpdatePBestPKfPfS1_i,@function
_Z17kernelUpdatePBestPKfPfS1_i:         ; @_Z17kernelUpdatePBestPKfPfS1_i
; %bb.0:
	s_load_dword s3, s[0:1], 0x2c
	s_load_dword s4, s[0:1], 0x18
	s_waitcnt lgkmcnt(0)
	s_and_b32 s3, s3, 0xffff
	s_mul_i32 s2, s2, s3
	v_add_u32_e32 v0, s2, v0
	v_cmp_gt_i32_e32 vcc, s4, v0
	s_and_saveexec_b64 s[2:3], vcc
	s_cbranch_execz .LBB1_153
; %bb.1:
	s_load_dwordx4 s[4:7], s[0:1], 0x0
	v_mul_lo_u32 v0, v0, 30
	v_ashrrev_i32_e32 v1, 31, v0
	v_lshlrev_b64 v[0:1], 2, v[0:1]
	s_brev_b32 s2, 18
	s_waitcnt lgkmcnt(0)
	v_lshl_add_u64 v[60:61], s[4:5], 0, v[0:1]
	global_load_dwordx4 v[4:7], v[60:61], off
	global_load_dwordx4 v[8:11], v[60:61], off offset:16
	v_lshl_add_u64 v[0:1], s[6:7], 0, v[0:1]
	global_load_dwordx4 v[12:15], v[0:1], off
	global_load_dwordx4 v[16:19], v[0:1], off offset:16
	global_load_dwordx4 v[20:23], v[60:61], off offset:48
	;; [unrolled: 1-line block ×10, first 2 shown]
	global_load_dwordx2 v[2:3], v[60:61], off offset:112
	global_load_dwordx4 v[56:59], v[0:1], off offset:96
	s_waitcnt vmcnt(14)
	scratch_store_dwordx4 off, v[4:7], off
	global_load_dwordx2 v[4:5], v[0:1], off offset:112
	s_nop 0
	scratch_load_dword v6, off, off
	v_mov_b32_e32 v7, 1.0
	s_waitcnt vmcnt(15)
	scratch_store_dwordx4 off, v[12:15], off offset:128
	scratch_store_dwordx4 off, v[8:11], off offset:16
	s_waitcnt vmcnt(16)
	scratch_store_dwordx4 off, v[16:19], off offset:144
	s_waitcnt vmcnt(15)
	scratch_store_dwordx4 off, v[24:27], off offset:32
	s_waitcnt vmcnt(15)
	scratch_store_dwordx4 off, v[28:31], off offset:160
	scratch_store_dwordx4 off, v[20:23], off offset:48
	s_waitcnt vmcnt(16)
	scratch_store_dwordx4 off, v[32:35], off offset:176
	s_waitcnt vmcnt(15)
	scratch_store_dwordx4 off, v[40:43], off offset:64
	;; [unrolled: 7-line block ×3, first 2 shown]
	s_waitcnt vmcnt(15)
	scratch_store_dwordx4 off, v[56:59], off offset:224
	scratch_store_dwordx2 off, v[2:3], off offset:112
	s_waitcnt vmcnt(15)
	scratch_store_dwordx2 off, v[4:5], off offset:240
	s_waitcnt vmcnt(15)
	v_add_f32_e32 v2, -1.0, v6
	v_fmamk_f32 v2, v2, 0x3e800000, v7
	v_mul_f32_e32 v5, 0x40490e56, v2
	v_and_b32_e32 v10, 0x7fffffff, v5
	v_cmp_nlt_f32_e64 s[12:13], |v5|, s2
                                        ; implicit-def: $vgpr2
                                        ; implicit-def: $vgpr4
	s_and_saveexec_b64 s[2:3], s[12:13]
	s_xor_b64 s[8:9], exec, s[2:3]
	s_cbranch_execz .LBB1_3
; %bb.2:
	v_lshrrev_b32_e32 v2, 23, v10
	v_add_u32_e32 v2, 0xffffff88, v2
	v_not_b32_e32 v4, 63
	v_cmp_lt_u32_e32 vcc, 63, v2
	s_mov_b32 s6, 0xfe5163ab
	v_mov_b32_e32 v7, 0
	v_cndmask_b32_e32 v4, 0, v4, vcc
	v_add_u32_e32 v2, v4, v2
	v_not_b32_e32 v4, 31
	v_cmp_lt_u32_e64 s[2:3], 31, v2
	s_nop 1
	v_cndmask_b32_e64 v6, 0, v4, s[2:3]
	v_add_u32_e32 v2, v6, v2
	v_cmp_lt_u32_e64 s[4:5], 31, v2
	s_nop 1
	v_cndmask_b32_e64 v4, 0, v4, s[4:5]
	v_add_u32_e32 v2, v4, v2
	v_and_b32_e32 v4, 0x7fffff, v10
	v_or_b32_e32 v4, 0x800000, v4
	v_mad_u64_u32 v[8:9], s[6:7], v4, s6, 0
	v_mov_b32_e32 v6, v9
	s_mov_b32 s6, 0x3c439041
	v_mad_u64_u32 v[12:13], s[6:7], v4, s6, v[6:7]
	v_mov_b32_e32 v6, v13
	s_mov_b32 s6, 0xdb629599
	;; [unrolled: 3-line block ×6, first 2 shown]
	v_mad_u64_u32 v[6:7], s[6:7], v4, s6, v[6:7]
	v_cndmask_b32_e32 v9, v20, v16, vcc
	v_cndmask_b32_e32 v4, v6, v18, vcc
	;; [unrolled: 1-line block ×3, first 2 shown]
	v_cndmask_b32_e64 v6, v4, v9, s[2:3]
	v_cndmask_b32_e64 v4, v7, v4, s[2:3]
	v_cndmask_b32_e32 v7, v18, v14, vcc
	v_cndmask_b32_e64 v9, v9, v7, s[2:3]
	v_cndmask_b32_e64 v4, v4, v6, s[4:5]
	;; [unrolled: 1-line block ×3, first 2 shown]
	v_sub_u32_e32 v11, 32, v2
	v_alignbit_b32 v13, v4, v6, v11
	v_cmp_eq_u32_e64 s[6:7], 0, v2
	v_cndmask_b32_e32 v8, v14, v8, vcc
	s_nop 0
	v_cndmask_b32_e64 v2, v13, v4, s[6:7]
	v_cndmask_b32_e32 v4, v16, v12, vcc
	v_cndmask_b32_e64 v7, v7, v4, s[2:3]
	v_cndmask_b32_e64 v9, v9, v7, s[4:5]
	v_alignbit_b32 v12, v6, v9, v11
	v_cndmask_b32_e64 v6, v12, v6, s[6:7]
	v_bfe_u32 v15, v2, 29, 1
	v_alignbit_b32 v12, v2, v6, 30
	v_sub_u32_e32 v16, 0, v15
	v_cndmask_b32_e64 v4, v4, v8, s[2:3]
	v_xor_b32_e32 v17, v12, v16
	v_cndmask_b32_e64 v4, v7, v4, s[4:5]
	v_alignbit_b32 v7, v9, v4, v11
	v_ffbh_u32_e32 v8, v17
	v_cndmask_b32_e64 v7, v7, v9, s[6:7]
	v_add_u32_e32 v8, 1, v8
	v_cmp_ne_u32_e32 vcc, v12, v16
	v_alignbit_b32 v6, v6, v7, 30
	v_alignbit_b32 v4, v7, v4, 30
	v_cndmask_b32_e32 v8, 33, v8, vcc
	v_xor_b32_e32 v6, v6, v16
	v_sub_u32_e32 v9, 32, v8
	v_xor_b32_e32 v4, v4, v16
	v_alignbit_b32 v11, v17, v6, v9
	v_alignbit_b32 v4, v6, v4, v9
	;; [unrolled: 1-line block ×3, first 2 shown]
	v_ffbh_u32_e32 v7, v6
	v_min_u32_e32 v7, 32, v7
	v_lshrrev_b32_e32 v13, 29, v2
	v_sub_u32_e32 v9, 31, v7
	v_alignbit_b32 v4, v6, v4, v9
	v_lshlrev_b32_e32 v6, 31, v13
	v_or_b32_e32 v9, 0x33800000, v6
	v_add_lshl_u32 v7, v7, v8, 23
	v_lshrrev_b32_e32 v4, 9, v4
	v_sub_u32_e32 v7, v9, v7
	v_or_b32_e32 v4, v7, v4
	v_alignbit_b32 v7, v8, v11, 9
	v_or_b32_e32 v6, v7, v6
	v_xor_b32_e32 v6, 1.0, v6
	s_mov_b32 s2, 0x3fc90fda
	v_mul_f32_e32 v7, 0x3fc90fda, v6
	v_fma_f32 v8, v6, s2, -v7
	v_fmamk_f32 v6, v6, 0x33a22168, v8
	v_fmac_f32_e32 v6, 0x3fc90fda, v4
	v_lshrrev_b32_e32 v2, 30, v2
	v_add_f32_e32 v4, v7, v6
	v_add_u32_e32 v2, v15, v2
.LBB1_3:
	s_or_saveexec_b64 s[2:3], s[8:9]
	s_load_dwordx2 s[10:11], s[0:1], 0x10
	s_xor_b64 exec, exec, s[2:3]
; %bb.4:
	s_mov_b32 s0, 0x3f22f983
	v_mul_f32_e64 v2, |v5|, s0
	v_rndne_f32_e32 v4, v2
	s_mov_b32 s0, 0xbfc90fda
	v_cvt_i32_f32_e32 v2, v4
	v_fma_f32 v6, v4, s0, |v5|
	v_fmamk_f32 v6, v4, 0xb3a22168, v6
	v_fmamk_f32 v4, v4, 0xa7c234c4, v6
; %bb.5:
	s_or_b64 exec, exec, s[2:3]
	v_mul_f32_e32 v6, v4, v4
	v_mov_b32_e32 v11, 0x3c0881c4
	v_fmamk_f32 v7, v6, 0xb94c1982, v11
	v_fmaak_f32 v7, v6, v7, 0xbe2aaa9d
	v_mul_f32_e32 v7, v6, v7
	v_mov_b32_e32 v12, 0xbab64f3b
	v_fmac_f32_e32 v4, v4, v7
	v_fmamk_f32 v7, v6, 0x37d75334, v12
	v_fmaak_f32 v7, v6, v7, 0x3d2aabf7
	v_fmaak_f32 v7, v6, v7, 0xbf000004
	v_fma_f32 v6, v6, v7, 1.0
	v_and_b32_e32 v7, 1, v2
	v_lshlrev_b32_e32 v2, 30, v2
	v_cmp_eq_u32_e32 vcc, 0, v7
	v_and_b32_e32 v2, 0x80000000, v2
	v_xor_b32_e32 v2, v10, v2
	v_cndmask_b32_e32 v4, v6, v4, vcc
	v_add_f32_e32 v3, -1.0, v3
	s_mov_b32 s14, 0x3e800000
	v_xor_b32_e32 v2, v2, v4
	s_movk_i32 s16, 0x1f8
	v_fma_f32 v3, v3, s14, 1.0
	v_xor_b32_e32 v4, v2, v5
	v_mov_b32_e32 v13, 0x7fc00000
	v_cmp_class_f32_e64 vcc, v5, s16
                                        ; implicit-def: $vgpr8
                                        ; implicit-def: $vgpr8
	;; [unrolled: 1-line block ×3, first 2 shown]
	v_add_f32_e32 v3, -1.0, v3
	v_frexp_mant_f32_e64 v8, |v3|
	v_cndmask_b32_e64 v6, v13, |v4|, vcc
	v_frexp_mant_f32_e32 v9, v6
	v_cvt_f64_f32_e32 v[14:15], v6
	s_mov_b32 s17, 0x3f2aaaab
	v_cndmask_b32_e32 v2, v13, v4, vcc
	v_frexp_exp_i32_f64_e32 v4, v[14:15]
	v_cvt_f64_f32_e64 v[14:15], |v3|
	v_cmp_gt_f32_e64 s[0:1], s17, v9
	v_cmp_gt_f32_e64 s[2:3], s17, v8
	v_frexp_exp_i32_f64_e32 v7, v[14:15]
	v_cndmask_b32_e64 v15, 1.0, 2.0, s[0:1]
	v_cndmask_b32_e64 v14, 1.0, 2.0, s[2:3]
	v_pk_mul_f32 v[8:9], v[8:9], v[14:15]
	v_subbrev_co_u32_e64 v4, s[0:1], 0, v4, s[0:1]
	v_pk_add_f32 v[14:15], v[8:9], 1.0 op_sel_hi:[1,0]
	v_cvt_f32_i32_e32 v4, v4
	v_rcp_f32_e32 v17, v15
	v_rcp_f32_e32 v16, v14
	v_pk_add_f32 v[18:19], -1.0, v[14:15] op_sel_hi:[0,1]
	v_pk_add_f32 v[18:19], v[8:9], v[18:19] neg_lo:[0,1] neg_hi:[0,1]
	v_pk_add_f32 v[8:9], -1.0, v[8:9] op_sel_hi:[0,1]
	v_pk_mul_f32 v[20:21], v[8:9], v[16:17]
	v_mov_b32_e32 v27, v9
	v_pk_mul_f32 v[22:23], v[14:15], v[20:21]
	s_mov_b32 s18, 0x3f317218
	v_pk_fma_f32 v[14:15], v[20:21], v[14:15], v[22:23] neg_lo:[0,0,1] neg_hi:[0,0,1]
	v_mov_b32_e32 v28, v23
	v_pk_fma_f32 v[14:15], v[20:21], v[18:19], v[14:15]
	s_movk_i32 s19, 0x204
	v_pk_add_f32 v[18:19], v[22:23], v[14:15]
	s_mov_b32 s20, 0x42b17218
	v_pk_add_f32 v[24:25], v[8:9], v[18:19] neg_lo:[0,1] neg_hi:[0,1]
	v_mov_b32_e32 v26, v19
	v_mov_b32_e32 v29, v25
	v_pk_add_f32 v[26:27], v[26:27], v[28:29] neg_lo:[0,1] neg_hi:[0,1]
	v_mov_b32_e32 v29, v19
	v_mov_b32_e32 v19, v8
	;; [unrolled: 1-line block ×4, first 2 shown]
	v_pk_add_f32 v[8:9], v[18:19], v[22:23] neg_lo:[0,1] neg_hi:[0,1]
	v_mov_b32_e32 v15, v18
	v_pk_add_f32 v[26:27], v[26:27], v[28:29] neg_lo:[0,1] neg_hi:[0,1]
	v_pk_add_f32 v[8:9], v[8:9], v[14:15] neg_lo:[0,1] neg_hi:[0,1]
	v_mov_b32_e32 v15, v26
	v_mov_b32_e32 v14, v8
	v_mov_b32_e32 v26, v9
	v_pk_add_f32 v[8:9], v[14:15], v[26:27]
	v_mul_f32_e32 v26, 0x3f317218, v4
	v_pk_add_f32 v[8:9], v[24:25], v[8:9]
	v_fma_f32 v28, v4, s18, -v26
	v_pk_mul_f32 v[8:9], v[16:17], v[8:9]
	v_fmac_f32_e32 v28, 0xb102e308, v4
	v_pk_add_f32 v[14:15], v[20:21], v[8:9]
	v_subbrev_co_u32_e64 v4, s[0:1], 0, v7, s[2:3]
	v_pk_add_f32 v[16:17], v[14:15], v[20:21] neg_lo:[0,1] neg_hi:[0,1]
	v_cvt_f32_i32_e32 v4, v4
	v_pk_add_f32 v[8:9], v[8:9], v[16:17] neg_lo:[0,1] neg_hi:[0,1]
	v_pk_mul_f32 v[16:17], v[14:15], v[14:15]
	v_pk_add_f32 v[20:21], v[8:9], v[8:9]
	v_pk_fma_f32 v[18:19], v[14:15], v[14:15], v[16:17] neg_lo:[0,0,1] neg_hi:[0,0,1]
	v_mul_f32_e32 v30, 0x3f317218, v4
	v_pk_fma_f32 v[18:19], v[14:15], v[20:21], v[18:19]
	v_fma_f32 v32, v4, s18, -v30
	v_pk_add_f32 v[20:21], v[16:17], v[18:19]
	v_fmac_f32_e32 v32, 0xb102e308, v4
	v_pk_add_f32 v[16:17], v[20:21], v[16:17] neg_lo:[0,1] neg_hi:[0,1]
	v_mov_b32_e32 v4, 0x3e91f4c4
	v_pk_add_f32 v[16:17], v[18:19], v[16:17] neg_lo:[0,1] neg_hi:[0,1]
	v_pk_mul_f32 v[18:19], v[14:15], v[20:21]
	s_mov_b32 s0, 0x3e76c4e1
	v_pk_fma_f32 v[22:23], v[20:21], v[14:15], v[18:19] neg_lo:[0,0,1] neg_hi:[0,0,1]
	v_ldexp_f32 v29, v15, 1
	v_pk_fma_f32 v[22:23], v[20:21], v[8:9], v[22:23]
	v_ldexp_f32 v33, v14, 1
	v_pk_fma_f32 v[22:23], v[16:17], v[14:15], v[22:23]
	s_mov_b32 s2, 0x31739010
	v_pk_add_f32 v[24:25], v[18:19], v[22:23]
	s_mov_b32 s3, 0xbf2aaaaa
	v_pk_add_f32 v[18:19], v[24:25], v[18:19] neg_lo:[0,1] neg_hi:[0,1]
	v_ldexp_f32 v9, v9, 1
	v_pk_add_f32 v[14:15], v[22:23], v[18:19] neg_lo:[0,1] neg_hi:[0,1]
	v_pk_fma_f32 v[18:19], v[20:21], s[0:1], v[4:5] op_sel_hi:[1,0,0]
	s_mov_b32 s0, 0x3ecccdef
	v_pk_fma_f32 v[18:19], v[20:21], v[18:19], s[0:1] op_sel_hi:[1,1,0]
	s_mov_b32 s1, 0x3f2aaaaa
	v_pk_mul_f32 v[22:23], v[20:21], v[18:19]
	v_ldexp_f32 v8, v8, 1
	v_pk_fma_f32 v[20:21], v[20:21], v[18:19], v[22:23] neg_lo:[0,0,1] neg_hi:[0,0,1]
	s_mov_b32 s21, 0x3fb8aa3b
	v_pk_fma_f32 v[16:17], v[16:17], v[18:19], v[20:21]
	s_mov_b32 s22, 0xc2ce8ed0
	v_pk_add_f32 v[18:19], v[22:23], v[16:17]
	s_brev_b32 s24, -2
	v_pk_add_f32 v[20:21], v[18:19], v[22:23] neg_lo:[0,1] neg_hi:[0,1]
	v_mov_b32_e32 v22, v17
	v_mov_b32_e32 v34, v21
	v_pk_add_f32 v[22:23], v[22:23], v[34:35] neg_lo:[0,1] neg_hi:[0,1]
	v_pk_add_f32 v[34:35], v[18:19], s[0:1]
	v_mov_b32_e32 v7, v18
	v_mov_b32_e32 v23, v35
	v_mov_b32_e32 v35, 0x3f2aaaaa
	v_mov_b32_e32 v34, v16
	v_pk_add_f32 v[16:17], v[16:17], v[20:21] neg_lo:[0,1] neg_hi:[0,1]
	v_pk_add_f32 v[20:21], v[34:35], v[6:7]
	v_pk_add_f32 v[22:23], v[22:23], s[2:3]
	v_mov_b32_e32 v17, v21
	v_pk_add_f32 v[16:17], v[16:17], s[2:3]
	v_mov_b32_e32 v21, v23
	v_mov_b32_e32 v20, v17
	v_pk_add_f32 v[20:21], v[18:19], v[20:21] neg_lo:[0,1] neg_hi:[0,1]
	v_mov_b32_e32 v17, v22
	s_mov_b32 s0, s1
	v_pk_add_f32 v[16:17], v[16:17], v[20:21]
	v_pk_add_f32 v[18:19], v[18:19], s[0:1] op_sel_hi:[1,0]
	v_cmp_eq_f32_e64 s[0:1], 1.0, v2
	v_pk_add_f32 v[20:21], v[18:19], v[16:17]
	s_mov_b32 s23, 0x7f800000
	v_pk_mul_f32 v[22:23], v[24:25], v[20:21]
	v_pk_add_f32 v[18:19], v[18:19], v[20:21] neg_lo:[0,1] neg_hi:[0,1]
	v_cmp_eq_f32_e64 s[8:9], 0, v3
	v_pk_add_f32 v[16:17], v[16:17], v[18:19]
	v_pk_fma_f32 v[18:19], v[24:25], v[20:21], v[22:23] neg_lo:[0,0,1] neg_hi:[0,0,1]
	v_cmp_class_f32_e64 s[26:27], v3, s19
	v_pk_fma_f32 v[16:17], v[24:25], v[16:17], v[18:19]
	s_mov_b32 s15, 0
	v_pk_fma_f32 v[14:15], v[14:15], v[20:21], v[16:17]
	s_brev_b32 s25, 18
	v_pk_add_f32 v[16:17], v[22:23], v[14:15]
	s_mov_b32 s28, 0xdb629599
	v_pk_add_f32 v[20:21], v[16:17], v[22:23] neg_lo:[0,1] neg_hi:[0,1]
	v_mov_b32_e32 v27, v17
	v_pk_add_f32 v[14:15], v[14:15], v[20:21] neg_lo:[0,1] neg_hi:[0,1]
	v_mov_b32_e32 v31, v16
	v_pk_add_f32 v[18:19], v[26:27], v[28:29]
	v_pk_add_f32 v[8:9], v[8:9], v[14:15]
	;; [unrolled: 1-line block ×3, first 2 shown]
	v_mov_b32_e32 v21, v19
	v_mov_b32_e32 v20, v15
	v_mov_b32_e32 v22, v33
	v_mov_b32_e32 v23, v29
	v_pk_add_f32 v[22:23], v[20:21], v[22:23] neg_lo:[0,1] neg_hi:[0,1]
	v_mov_b32_e32 v7, v18
	v_pk_add_f32 v[16:17], v[16:17], v[22:23] neg_lo:[0,1] neg_hi:[0,1]
	s_mov_b32 s29, 0xf534ddc0
	v_pk_add_f32 v[8:9], v[8:9], v[16:17]
	s_mov_b32 s30, 0xfc2757d1
	v_mov_b32_e32 v27, v9
	v_pk_add_f32 v[16:17], v[18:19], v[26:27] neg_lo:[0,1] neg_hi:[0,1]
	v_mov_b32_e32 v31, v8
	v_pk_add_f32 v[22:23], v[18:19], v[26:27]
	v_pk_add_f32 v[16:17], v[28:29], v[16:17] neg_lo:[0,1] neg_hi:[0,1]
	v_pk_add_f32 v[28:29], v[14:15], v[30:31]
	v_pk_add_f32 v[24:25], v[6:7], v[22:23]
	v_mov_b32_e32 v22, v29
	v_pk_add_f32 v[26:27], v[14:15], v[30:31] neg_lo:[0,1] neg_hi:[0,1]
	v_pk_add_f32 v[20:21], v[22:23], v[20:21] neg_lo:[0,1] neg_hi:[0,1]
	v_mov_b32_e32 v7, v14
	v_pk_add_f32 v[8:9], v[8:9], v[20:21] neg_lo:[0,1] neg_hi:[0,1]
	v_pk_add_f32 v[20:21], v[32:33], v[26:27] neg_lo:[0,1] neg_hi:[0,1]
	v_pk_add_f32 v[26:27], v[6:7], v[28:29]
	v_mov_b32_e32 v15, v18
	v_mov_b32_e32 v24, v27
	v_pk_add_f32 v[18:19], v[24:25], v[14:15] neg_lo:[0,1] neg_hi:[0,1]
	v_mov_b32_e32 v21, v27
	v_pk_add_f32 v[26:27], v[24:25], v[18:19] neg_lo:[0,1] neg_hi:[0,1]
	v_pk_add_f32 v[18:19], v[22:23], v[18:19] neg_lo:[0,1] neg_hi:[0,1]
	;; [unrolled: 1-line block ×3, first 2 shown]
	v_mov_b32_e32 v17, v25
	v_pk_add_f32 v[14:15], v[18:19], v[14:15]
	v_mov_b32_e32 v18, v20
	v_mov_b32_e32 v19, v16
	v_pk_add_f32 v[22:23], v[18:19], v[8:9]
	v_mov_b32_e32 v7, 0x204
	v_pk_add_f32 v[14:15], v[22:23], v[14:15]
	v_mov_b32_e32 v26, v23
	v_pk_add_f32 v[24:25], v[24:25], v[14:15]
	v_mov_b32_e32 v28, v22
	v_mov_b32_e32 v27, v25
	;; [unrolled: 1-line block ×3, first 2 shown]
	v_pk_add_f32 v[16:17], v[26:27], v[16:17] neg_lo:[0,1] neg_hi:[0,1]
	v_pk_add_f32 v[20:21], v[28:29], v[20:21] neg_lo:[0,1] neg_hi:[0,1]
	v_mov_b32_e32 v26, v9
	v_mov_b32_e32 v27, v15
	;; [unrolled: 1-line block ×5, first 2 shown]
	v_pk_add_f32 v[26:27], v[26:27], v[16:17] neg_lo:[0,1] neg_hi:[0,1]
	v_pk_add_f32 v[16:17], v[22:23], v[28:29] neg_lo:[0,1] neg_hi:[0,1]
	;; [unrolled: 1-line block ×4, first 2 shown]
	v_mov_b32_e32 v14, v8
	v_mov_b32_e32 v15, v26
	v_pk_add_f32 v[14:15], v[14:15], v[16:17]
	v_mov_b32_e32 v26, v9
	v_pk_add_f32 v[8:9], v[14:15], v[26:27]
	v_cndmask_b32_e64 v19, 2.0, 1.0, s[0:1]
	v_cmp_eq_f32_e64 s[0:1], 1.0, v3
	v_pk_add_f32 v[14:15], v[24:25], v[8:9]
	s_mov_b32 s31, 0x4e441529
	v_cndmask_b32_e64 v18, 2.0, 1.0, s[0:1]
	v_pk_add_f32 v[16:17], v[14:15], v[24:25] neg_lo:[0,1] neg_hi:[0,1]
	v_pk_mul_f32 v[20:21], v[18:19], v[14:15]
	v_pk_add_f32 v[8:9], v[8:9], v[16:17] neg_lo:[0,1] neg_hi:[0,1]
	v_pk_fma_f32 v[14:15], v[18:19], v[14:15], v[20:21] neg_lo:[0,0,1] neg_hi:[0,0,1]
	v_cmp_class_f32_e64 s[0:1], v21, s19
	v_pk_fma_f32 v[8:9], v[18:19], v[8:9], v[14:15]
	s_mov_b32 s33, 0xa2f9836e
	v_pk_add_f32 v[14:15], v[20:21], v[8:9]
	s_mov_b32 s34, 0x3fc90fda
	v_pk_add_f32 v[16:17], v[14:15], v[20:21] neg_lo:[0,1] neg_hi:[0,1]
	s_mov_b32 s35, 0x3f22f983
	v_pk_add_f32 v[8:9], v[8:9], v[16:17] neg_lo:[0,1] neg_hi:[0,1]
	v_cndmask_b32_e64 v17, v15, v21, s[0:1]
	v_cmp_class_f32_e64 s[0:1], v20, s19
	s_mov_b32 s36, 0xbfc90fda
	s_mov_b32 s37, 0x41200000
	v_cndmask_b32_e64 v16, v14, v20, s[0:1]
	v_cmp_class_f32_e64 s[0:1], v17, v7
	v_mov_b32_e32 v14, 0x37000000
	s_nop 0
	v_cndmask_b32_e64 v9, v9, 0, s[0:1]
	v_cmp_eq_f32_e64 s[0:1], s20, v17
	s_nop 1
	v_cndmask_b32_e64 v21, 0, v14, s[0:1]
	v_cmp_eq_f32_e64 s[0:1], s20, v16
	s_nop 1
	v_cndmask_b32_e64 v20, 0, v14, s[0:1]
	v_pk_add_f32 v[22:23], v[16:17], v[20:21] neg_lo:[0,1] neg_hi:[0,1]
	v_cmp_class_f32_e64 s[0:1], v16, v7
	v_mul_f32_e32 v15, 0x3fb8aa3b, v23
	v_fma_f32 v17, v23, s21, -v15
	v_rndne_f32_e32 v24, v15
	v_fmac_f32_e32 v17, 0x32a5705f, v23
	v_sub_f32_e32 v15, v15, v24
	v_add_f32_e32 v15, v15, v17
	v_exp_f32_e32 v15, v15
	v_cvt_i32_f32_e32 v17, v24
	v_cndmask_b32_e64 v8, v8, 0, s[0:1]
	v_cmp_ngt_f32_e64 s[0:1], s22, v23
	v_pk_add_f32 v[8:9], v[20:21], v[8:9]
	v_ldexp_f32 v15, v15, v17
	v_cndmask_b32_e64 v16, 0, v15, s[0:1]
	v_mul_f32_e32 v15, 0x3fb8aa3b, v22
	v_fma_f32 v17, v22, s21, -v15
	v_rndne_f32_e32 v20, v15
	v_fmac_f32_e32 v17, 0x32a5705f, v22
	v_sub_f32_e32 v15, v15, v20
	v_add_f32_e32 v15, v15, v17
	v_exp_f32_e32 v21, v15
	v_cvt_i32_f32_e32 v20, v20
	v_mov_b32_e32 v15, 0x7f800000
	v_cmp_nlt_f32_e64 s[0:1], s20, v23
	s_nop 1
	v_cndmask_b32_e64 v17, v15, v16, s[0:1]
	v_ldexp_f32 v16, v21, v20
	v_cmp_ngt_f32_e64 s[0:1], s22, v22
	s_nop 1
	v_cndmask_b32_e64 v16, 0, v16, s[0:1]
	v_cmp_nlt_f32_e64 s[0:1], s20, v22
	s_nop 1
	v_cndmask_b32_e64 v16, v15, v16, s[0:1]
	v_pk_fma_f32 v[8:9], v[16:17], v[8:9], v[16:17]
	v_cmp_class_f32_e64 s[0:1], v16, v7
	s_nop 1
	v_cndmask_b32_e64 v16, v8, v16, s[0:1]
	v_cmp_class_f32_e64 s[0:1], v17, v7
	v_trunc_f32_e32 v8, v19
	s_nop 0
	v_cndmask_b32_e64 v7, v9, v17, s[0:1]
	v_trunc_f32_e32 v9, v18
	v_cmp_eq_f32_e64 s[0:1], v8, v19
	v_cmp_eq_f32_e64 s[2:3], v9, v18
	v_pk_mul_f32 v[8:9], v[18:19], 0.5 op_sel_hi:[1,0]
	s_nop 0
	v_trunc_f32_e32 v17, v9
	v_trunc_f32_e32 v18, v8
	v_cmp_neq_f32_e64 s[6:7], v17, v9
	v_cmp_neq_f32_e64 s[4:5], v18, v8
	s_and_b64 s[6:7], s[0:1], s[6:7]
	v_cndmask_b32_e64 v8, 1.0, v2, s[6:7]
	s_and_b64 s[4:5], s[2:3], s[4:5]
	v_cndmask_b32_e64 v9, 1.0, v3, s[4:5]
	v_bfi_b32 v7, s24, v7, v8
	v_bfi_b32 v8, s24, v16, v9
	v_cndmask_b32_e64 v16, v13, v7, s[0:1]
	v_cmp_gt_f32_e64 s[0:1], 0, v2
	v_cndmask_b32_e64 v9, v13, v8, s[2:3]
	v_cmp_eq_f32_e64 s[2:3], 0, v2
	v_cndmask_b32_e64 v7, v7, v16, s[0:1]
	v_cmp_gt_f32_e64 s[0:1], 0, v3
	v_cndmask_b32_e64 v16, 0, v2, s[6:7]
	v_cndmask_b32_e64 v17, 0, v3, s[4:5]
	;; [unrolled: 1-line block ×3, first 2 shown]
	v_cmp_eq_f32_e64 s[0:1], s23, v6
	v_cndmask_b32_e64 v6, v15, 0, s[2:3]
	v_cndmask_b32_e64 v9, v15, 0, s[8:9]
	v_bfi_b32 v6, s24, v6, v16
	s_or_b64 s[0:1], s[2:3], s[0:1]
	v_bfi_b32 v9, s24, v9, v17
	s_or_b64 s[4:5], s[26:27], s[8:9]
	v_cndmask_b32_e64 v6, v7, v6, s[0:1]
	v_cmp_o_f32_e64 s[0:1], v2, v2
	v_cndmask_b32_e64 v8, v8, v9, s[4:5]
	s_mov_b32 s26, 0xfe5163ab
	v_cndmask_b32_e64 v6, v13, v6, s[0:1]
	v_cmp_o_f32_e64 s[0:1], v3, v3
	s_mov_b32 s27, 0x3c439041
	v_mov_b32_e32 v7, 0
	v_cndmask_b32_e64 v2, v13, v8, s[0:1]
	v_add_f32_e32 v3, v2, v6
	v_not_b32_e32 v16, 63
	v_not_b32_e32 v17, 31
                                        ; implicit-def: $vgpr6
	s_branch .LBB1_7
.LBB1_6:                                ;   in Loop: Header=BB1_7 Depth=1
	s_or_b64 exec, exec, s[0:1]
	v_add_f32_e32 v8, -1.0, v8
	v_fma_f32 v8, v8, s14, 1.0
	v_add_f32_e32 v36, -1.0, v8
	v_cmp_eq_f32_e64 s[0:1], 1.0, v36
	v_frexp_mant_f32_e64 v8, |v36|
	v_cmp_class_f32_e64 s[4:5], v36, s19
	v_cndmask_b32_e64 v37, 2.0, 1.0, s[0:1]
	v_cmp_gt_f32_e64 s[0:1], s17, v8
	v_xor_b32_e32 v18, v18, v9
	s_add_i32 s15, s15, 4
	v_cndmask_b32_e64 v20, 1.0, 2.0, s[0:1]
	v_mul_f32_e32 v8, v8, v20
	v_add_f32_e32 v20, 1.0, v8
	v_rcp_f32_e32 v28, v20
	v_add_f32_e32 v21, -1.0, v20
	v_sub_f32_e32 v23, v8, v21
	v_add_f32_e32 v21, -1.0, v8
	v_mul_f32_e32 v8, v21, v28
	v_mul_f32_e32 v22, v20, v8
	v_fma_f32 v24, v8, v20, -v22
	v_fmac_f32_e32 v24, v8, v23
	v_add_f32_e32 v20, v22, v24
	v_sub_f32_e32 v23, v21, v20
	v_pk_add_f32 v[26:27], v[20:21], v[22:23] neg_lo:[0,1] neg_hi:[0,1]
	v_mov_b32_e32 v25, v20
	v_pk_add_f32 v[20:21], v[26:27], v[24:25] neg_lo:[0,1] neg_hi:[0,1]
	s_nop 0
	v_add_f32_e32 v20, v20, v21
	v_add_f32_e32 v20, v23, v20
	v_mul_f32_e32 v21, v28, v20
	v_add_f32_e32 v20, v8, v21
	v_sub_f32_e32 v8, v20, v8
	v_sub_f32_e32 v30, v21, v8
	v_mul_f32_e32 v8, v20, v20
	v_fma_f32 v21, v20, v20, -v8
	v_add_f32_e32 v22, v30, v30
	v_fmac_f32_e32 v21, v20, v22
	v_add_f32_e32 v22, v8, v21
	v_fmamk_f32 v23, v22, 0x3e76c4e1, v4
	v_fmaak_f32 v23, v22, v23, 0x3ecccdef
	v_sub_f32_e32 v8, v22, v8
	v_sub_f32_e32 v8, v21, v8
	v_mul_f32_e32 v21, v22, v23
	v_fma_f32 v24, v22, v23, -v21
	v_fmac_f32_e32 v24, v8, v23
	v_add_f32_e32 v23, v21, v24
	v_add_f32_e32 v25, 0x3f2aaaaa, v23
	v_sub_f32_e32 v21, v23, v21
	v_sub_f32_e32 v21, v24, v21
	v_add_f32_e32 v24, 0xbf2aaaaa, v25
	v_add_f32_e32 v21, 0x31739010, v21
	v_sub_f32_e32 v23, v23, v24
	v_pk_mul_f32 v[26:27], v[20:21], v[22:23]
	v_pk_add_f32 v[28:29], v[20:21], v[22:23]
	v_fma_f32 v24, v22, v20, -v26
	v_fmac_f32_e32 v24, v22, v30
	v_mov_b32_e32 v27, v29
	v_fmac_f32_e32 v24, v8, v20
	v_pk_add_f32 v[22:23], v[26:27], v[24:25]
	s_nop 0
	v_sub_f32_e32 v8, v22, v26
	v_sub_f32_e32 v21, v24, v8
	;; [unrolled: 1-line block ×3, first 2 shown]
	v_add_f32_e32 v28, v29, v8
	v_mov_b32_e32 v8, v23
	v_cvt_f64_f32_e64 v[26:27], |v36|
	v_pk_mul_f32 v[24:25], v[22:23], v[8:9]
	v_frexp_exp_i32_f64_e32 v8, v[26:27]
	v_subbrev_co_u32_e64 v8, s[0:1], 0, v8, s[0:1]
	v_cvt_f32_i32_e32 v8, v8
	v_fma_f32 v26, v22, v23, -v24
	v_fmac_f32_e32 v26, v22, v28
	v_fmac_f32_e32 v26, v21, v23
	v_mul_f32_e32 v22, 0x3f317218, v8
	v_fma_f32 v28, v8, s18, -v22
	v_fmac_f32_e32 v28, 0xb102e308, v8
	v_ldexp_f32 v29, v20, 1
	v_add_f32_e32 v23, v24, v26
	v_pk_add_f32 v[20:21], v[22:23], v[28:29]
	v_ldexp_f32 v8, v30, 1
	v_mov_b32_e32 v30, v23
	v_mov_b32_e32 v31, v21
	;; [unrolled: 1-line block ×3, first 2 shown]
	v_pk_add_f32 v[24:25], v[30:31], v[24:25] neg_lo:[0,1] neg_hi:[0,1]
	v_mov_b32_e32 v27, v23
	v_pk_add_f32 v[24:25], v[26:27], v[24:25] neg_lo:[0,1] neg_hi:[0,1]
	v_mov_b32_e32 v29, v20
	v_add_f32_e32 v8, v8, v24
	v_add_f32_e32 v23, v8, v25
	v_pk_add_f32 v[24:25], v[20:21], v[22:23] neg_lo:[0,1] neg_hi:[0,1]
	v_pk_add_f32 v[26:27], v[20:21], v[22:23]
	v_mov_b32_e32 v30, v24
	v_mov_b32_e32 v31, v27
	v_pk_add_f32 v[30:31], v[28:29], v[30:31]
	v_pk_add_f32 v[24:25], v[28:29], v[24:25] neg_lo:[0,1] neg_hi:[0,1]
	v_mov_b32_e32 v8, v31
	v_pk_add_f32 v[32:33], v[8:9], v[20:21] neg_lo:[0,1] neg_hi:[0,1]
	v_mov_b32_e32 v30, v27
	v_mov_b32_e32 v33, v32
	;; [unrolled: 1-line block ×4, first 2 shown]
	v_pk_add_f32 v[34:35], v[26:27], v[32:33] neg_lo:[0,1] neg_hi:[0,1]
	v_pk_add_f32 v[20:21], v[30:31], v[20:21] neg_lo:[0,1] neg_hi:[0,1]
	v_mov_b32_e32 v28, v23
	v_pk_add_f32 v[20:21], v[28:29], v[20:21] neg_lo:[0,1] neg_hi:[0,1]
	v_mov_b32_e32 v34, v24
	v_pk_add_f32 v[22:23], v[34:35], v[20:21]
	v_mov_b32_e32 v25, v31
	v_mov_b32_e32 v26, v23
	v_pk_add_f32 v[26:27], v[22:23], v[26:27]
	s_nop 0
	v_pk_add_f32 v[28:29], v[8:9], v[26:27]
	v_mov_b32_e32 v21, v26
	v_mov_b32_e32 v23, v28
	v_pk_add_f32 v[30:31], v[22:23], v[24:25] neg_lo:[0,1] neg_hi:[0,1]
	s_nop 0
	v_sub_f32_e32 v8, v22, v30
	v_pk_add_f32 v[20:21], v[20:21], v[30:31] neg_lo:[0,1] neg_hi:[0,1]
	v_sub_f32_e32 v8, v24, v8
	v_add_f32_e32 v8, v20, v8
	v_add_f32_e32 v8, v8, v21
	;; [unrolled: 1-line block ×3, first 2 shown]
	v_sub_f32_e32 v21, v20, v28
	v_sub_f32_e32 v8, v8, v21
	v_mul_f32_e32 v21, v37, v20
	v_fma_f32 v20, v37, v20, -v21
	v_fmac_f32_e32 v20, v37, v8
	v_add_f32_e32 v8, v21, v20
	v_cmp_class_f32_e64 s[0:1], v21, s19
	v_sub_f32_e32 v22, v8, v21
	v_sub_f32_e32 v20, v20, v22
	v_cndmask_b32_e64 v8, v8, v21, s[0:1]
	v_cmp_eq_f32_e64 s[0:1], s20, v8
	s_nop 1
	v_cndmask_b32_e64 v21, 0, v14, s[0:1]
	v_sub_f32_e32 v22, v8, v21
	v_mul_f32_e32 v23, 0x3fb8aa3b, v22
	v_fma_f32 v24, v22, s21, -v23
	v_rndne_f32_e32 v25, v23
	v_fmac_f32_e32 v24, 0x32a5705f, v22
	v_sub_f32_e32 v23, v23, v25
	v_add_f32_e32 v23, v23, v24
	v_exp_f32_e32 v23, v23
	v_cvt_i32_f32_e32 v24, v25
	v_cmp_neq_f32_e64 s[0:1], |v8|, s23
	s_nop 1
	v_cndmask_b32_e64 v8, 0, v20, s[0:1]
	v_ldexp_f32 v20, v23, v24
	v_cmp_ngt_f32_e64 s[0:1], s22, v22
	v_add_f32_e32 v8, v21, v8
	s_nop 0
	v_cndmask_b32_e64 v20, 0, v20, s[0:1]
	v_cmp_nlt_f32_e64 s[0:1], s20, v22
	s_nop 1
	v_cndmask_b32_e64 v20, v15, v20, s[0:1]
	v_fma_f32 v8, v20, v8, v20
	v_cmp_class_f32_e64 s[0:1], v20, s19
	s_nop 1
	v_cndmask_b32_e64 v8, v8, v20, s[0:1]
	v_trunc_f32_e32 v20, v37
	v_cmp_eq_f32_e64 s[0:1], v20, v37
	v_mul_f32_e32 v20, 0.5, v37
	v_trunc_f32_e32 v21, v20
	v_cmp_neq_f32_e64 s[2:3], v21, v20
	s_and_b64 s[2:3], s[0:1], s[2:3]
	s_nop 0
	v_cndmask_b32_e64 v20, 1.0, v36, s[2:3]
	v_bfi_b32 v8, s24, v8, v20
	v_cndmask_b32_e64 v20, v13, v8, s[0:1]
	v_cmp_gt_f32_e64 s[0:1], 0, v36
	v_cndmask_b32_e64 v21, 0, v36, s[2:3]
	s_nop 0
	v_cndmask_b32_e64 v8, v8, v20, s[0:1]
	v_cmp_eq_f32_e64 s[0:1], 0, v36
	s_nop 1
	v_cndmask_b32_e64 v20, v15, 0, s[0:1]
	v_bfi_b32 v20, s24, v20, v21
	s_or_b64 s[0:1], s[0:1], s[4:5]
	v_cndmask_b32_e64 v8, v8, v20, s[0:1]
	v_cmp_o_f32_e64 s[0:1], v36, v36
	s_nop 1
	v_cndmask_b32_e64 v32, v13, v8, s[0:1]
	v_mul_f32_e32 v8, v19, v19
	v_fmamk_f32 v20, v8, 0xb94c1982, v11
	v_fmaak_f32 v20, v8, v20, 0xbe2aaa9d
	v_mul_f32_e32 v20, v8, v20
	v_fmac_f32_e32 v19, v19, v20
	v_fmamk_f32 v20, v8, 0x37d75334, v12
	v_fmaak_f32 v20, v8, v20, 0x3d2aabf7
	v_fmaak_f32 v20, v8, v20, 0xbf000004
	v_fma_f32 v8, v8, v20, 1.0
	v_and_b32_e32 v20, 1, v6
	v_lshlrev_b32_e32 v6, 30, v6
	v_cmp_eq_u32_e64 s[0:1], 0, v20
	v_and_b32_e32 v6, 0x80000000, v6
	v_xor_b32_e32 v6, v18, v6
	v_cndmask_b32_e64 v8, v8, v19, s[0:1]
	v_xor_b32_e32 v6, v6, v8
	v_cmp_class_f32_e64 s[0:1], v9, s16
	s_nop 1
	v_cndmask_b32_e64 v35, v13, |v6|, s[0:1]
	v_cndmask_b32_e64 v33, v13, v6, s[0:1]
	v_frexp_mant_f32_e32 v6, v35
	v_cmp_gt_f32_e64 s[0:1], s17, v6
	v_cmp_eq_f32_e64 s[2:3], 1.0, v33
	v_cmp_eq_f32_e64 s[4:5], 0, v33
	v_cndmask_b32_e64 v8, 1.0, 2.0, s[0:1]
	v_mul_f32_e32 v6, v6, v8
	v_add_f32_e32 v8, 1.0, v6
	v_rcp_f32_e32 v24, v8
	v_add_f32_e32 v9, -1.0, v8
	v_sub_f32_e32 v19, v6, v9
	v_add_f32_e32 v9, -1.0, v6
	v_mul_f32_e32 v6, v9, v24
	v_mul_f32_e32 v18, v8, v6
	v_fma_f32 v20, v6, v8, -v18
	v_fmac_f32_e32 v20, v6, v19
	v_add_f32_e32 v8, v18, v20
	v_sub_f32_e32 v19, v9, v8
	v_pk_add_f32 v[22:23], v[8:9], v[18:19] neg_lo:[0,1] neg_hi:[0,1]
	v_mov_b32_e32 v21, v8
	v_pk_add_f32 v[8:9], v[22:23], v[20:21] neg_lo:[0,1] neg_hi:[0,1]
	v_cndmask_b32_e64 v34, 2.0, 1.0, s[2:3]
	v_add_f32_e32 v8, v8, v9
	v_add_f32_e32 v8, v19, v8
	v_mul_f32_e32 v9, v24, v8
	v_add_f32_e32 v8, v6, v9
	v_sub_f32_e32 v6, v8, v6
	v_sub_f32_e32 v26, v9, v6
	v_mul_f32_e32 v6, v8, v8
	v_fma_f32 v9, v8, v8, -v6
	v_add_f32_e32 v18, v26, v26
	v_fmac_f32_e32 v9, v8, v18
	v_add_f32_e32 v18, v6, v9
	v_fmamk_f32 v19, v18, 0x3e76c4e1, v4
	v_fmaak_f32 v19, v18, v19, 0x3ecccdef
	v_sub_f32_e32 v6, v18, v6
	v_sub_f32_e32 v6, v9, v6
	v_mul_f32_e32 v9, v18, v19
	v_fma_f32 v20, v18, v19, -v9
	v_fmac_f32_e32 v20, v6, v19
	v_add_f32_e32 v19, v9, v20
	v_add_f32_e32 v21, 0x3f2aaaaa, v19
	v_sub_f32_e32 v9, v19, v9
	v_sub_f32_e32 v9, v20, v9
	v_add_f32_e32 v20, 0xbf2aaaaa, v21
	v_add_f32_e32 v9, 0x31739010, v9
	v_sub_f32_e32 v19, v19, v20
	v_pk_mul_f32 v[22:23], v[8:9], v[18:19]
	v_pk_add_f32 v[24:25], v[8:9], v[18:19]
	v_fma_f32 v20, v18, v8, -v22
	v_fmac_f32_e32 v20, v18, v26
	v_mov_b32_e32 v23, v25
	v_fmac_f32_e32 v20, v6, v8
	v_pk_add_f32 v[18:19], v[22:23], v[20:21]
	s_nop 0
	v_sub_f32_e32 v6, v18, v22
	v_sub_f32_e32 v9, v20, v6
	v_sub_f32_e32 v6, v21, v19
	v_add_f32_e32 v24, v25, v6
	v_mov_b32_e32 v6, v19
	v_cvt_f64_f32_e32 v[22:23], v35
	v_pk_mul_f32 v[20:21], v[18:19], v[6:7]
	v_frexp_exp_i32_f64_e32 v6, v[22:23]
	v_subbrev_co_u32_e64 v6, s[0:1], 0, v6, s[0:1]
	v_cvt_f32_i32_e32 v6, v6
	v_fma_f32 v22, v18, v19, -v20
	v_fmac_f32_e32 v22, v18, v24
	v_fmac_f32_e32 v22, v9, v19
	v_mul_f32_e32 v18, 0x3f317218, v6
	v_fma_f32 v24, v6, s18, -v18
	v_fmac_f32_e32 v24, 0xb102e308, v6
	v_ldexp_f32 v25, v8, 1
	v_add_f32_e32 v19, v20, v22
	v_pk_add_f32 v[8:9], v[18:19], v[24:25]
	v_ldexp_f32 v6, v26, 1
	v_mov_b32_e32 v26, v19
	v_mov_b32_e32 v27, v9
	;; [unrolled: 1-line block ×3, first 2 shown]
	v_pk_add_f32 v[20:21], v[26:27], v[20:21] neg_lo:[0,1] neg_hi:[0,1]
	v_mov_b32_e32 v23, v19
	v_pk_add_f32 v[20:21], v[22:23], v[20:21] neg_lo:[0,1] neg_hi:[0,1]
	v_mov_b32_e32 v25, v8
	v_add_f32_e32 v6, v6, v20
	v_add_f32_e32 v19, v6, v21
	v_pk_add_f32 v[20:21], v[8:9], v[18:19] neg_lo:[0,1] neg_hi:[0,1]
	v_pk_add_f32 v[22:23], v[8:9], v[18:19]
	v_mov_b32_e32 v26, v20
	v_mov_b32_e32 v27, v23
	v_pk_add_f32 v[26:27], v[24:25], v[26:27]
	v_pk_add_f32 v[20:21], v[24:25], v[20:21] neg_lo:[0,1] neg_hi:[0,1]
	v_mov_b32_e32 v6, v27
	v_pk_add_f32 v[28:29], v[6:7], v[8:9] neg_lo:[0,1] neg_hi:[0,1]
	v_mov_b32_e32 v26, v23
	v_mov_b32_e32 v29, v28
	;; [unrolled: 1-line block ×4, first 2 shown]
	v_pk_add_f32 v[30:31], v[22:23], v[28:29] neg_lo:[0,1] neg_hi:[0,1]
	v_pk_add_f32 v[8:9], v[26:27], v[8:9] neg_lo:[0,1] neg_hi:[0,1]
	v_mov_b32_e32 v24, v19
	v_pk_add_f32 v[8:9], v[24:25], v[8:9] neg_lo:[0,1] neg_hi:[0,1]
	v_mov_b32_e32 v30, v20
	v_pk_add_f32 v[18:19], v[30:31], v[8:9]
	v_mov_b32_e32 v21, v27
	v_mov_b32_e32 v22, v19
	v_pk_add_f32 v[22:23], v[18:19], v[22:23]
	s_nop 0
	v_pk_add_f32 v[24:25], v[6:7], v[22:23]
	v_mov_b32_e32 v9, v22
	v_mov_b32_e32 v19, v24
	v_pk_add_f32 v[26:27], v[18:19], v[20:21] neg_lo:[0,1] neg_hi:[0,1]
	s_nop 0
	v_sub_f32_e32 v6, v18, v26
	v_pk_add_f32 v[8:9], v[8:9], v[26:27] neg_lo:[0,1] neg_hi:[0,1]
	v_sub_f32_e32 v6, v20, v6
	v_add_f32_e32 v6, v8, v6
	v_add_f32_e32 v6, v6, v9
	;; [unrolled: 1-line block ×3, first 2 shown]
	v_sub_f32_e32 v9, v8, v24
	v_sub_f32_e32 v6, v6, v9
	v_mul_f32_e32 v9, v34, v8
	v_fma_f32 v8, v34, v8, -v9
	v_fmac_f32_e32 v8, v34, v6
	v_add_f32_e32 v6, v9, v8
	v_cmp_class_f32_e64 s[0:1], v9, s19
	v_sub_f32_e32 v18, v6, v9
	v_sub_f32_e32 v8, v8, v18
	v_cndmask_b32_e64 v6, v6, v9, s[0:1]
	v_cmp_eq_f32_e64 s[0:1], s20, v6
	s_nop 1
	v_cndmask_b32_e64 v9, 0, v14, s[0:1]
	v_sub_f32_e32 v18, v6, v9
	v_mul_f32_e32 v19, 0x3fb8aa3b, v18
	v_fma_f32 v20, v18, s21, -v19
	v_rndne_f32_e32 v21, v19
	v_fmac_f32_e32 v20, 0x32a5705f, v18
	v_sub_f32_e32 v19, v19, v21
	v_add_f32_e32 v19, v19, v20
	v_exp_f32_e32 v19, v19
	v_cvt_i32_f32_e32 v20, v21
	v_cmp_neq_f32_e64 s[0:1], |v6|, s23
	s_nop 1
	v_cndmask_b32_e64 v6, 0, v8, s[0:1]
	v_ldexp_f32 v8, v19, v20
	v_cmp_ngt_f32_e64 s[0:1], s22, v18
	v_add_f32_e32 v6, v9, v6
	s_nop 0
	v_cndmask_b32_e64 v8, 0, v8, s[0:1]
	v_cmp_nlt_f32_e64 s[0:1], s20, v18
	s_nop 1
	v_cndmask_b32_e64 v8, v15, v8, s[0:1]
	v_fma_f32 v6, v8, v6, v8
	v_cmp_class_f32_e64 s[0:1], v8, s19
	s_nop 1
	v_cndmask_b32_e64 v6, v6, v8, s[0:1]
	v_trunc_f32_e32 v8, v34
	v_cmp_eq_f32_e64 s[0:1], v8, v34
	v_mul_f32_e32 v8, 0.5, v34
	v_trunc_f32_e32 v9, v8
	v_cmp_neq_f32_e64 s[2:3], v9, v8
	s_and_b64 s[2:3], s[0:1], s[2:3]
	s_nop 0
	v_cndmask_b32_e64 v8, 1.0, v33, s[2:3]
	v_bfi_b32 v6, s24, v6, v8
	v_cndmask_b32_e64 v8, v13, v6, s[0:1]
	v_cmp_gt_f32_e64 s[0:1], 0, v33
	v_cndmask_b32_e64 v9, 0, v33, s[2:3]
	s_nop 0
	v_cndmask_b32_e64 v6, v6, v8, s[0:1]
	v_cmp_eq_f32_e64 s[0:1], s23, v35
	v_cndmask_b32_e64 v8, v15, 0, s[4:5]
	v_bfi_b32 v8, s24, v8, v9
	s_or_b64 s[0:1], s[4:5], s[0:1]
	v_cndmask_b32_e64 v6, v6, v8, s[0:1]
	v_fma_f32 v6, v6, s37, 1.0
	v_cmp_o_f32_e64 s[0:1], v33, v33
	s_cmpk_lg_i32 s15, 0x74
	s_nop 0
	v_cndmask_b32_e64 v6, v13, v6, s[0:1]
	v_fmac_f32_e32 v3, v32, v6
	s_cbranch_scc0 .LBB1_11
.LBB1_7:                                ; =>This Inner Loop Header: Depth=1
	s_add_i32 s0, s15, 0
	scratch_load_dwordx2 v[8:9], off, s0
                                        ; implicit-def: $vgpr19
	s_waitcnt vmcnt(0)
	v_add_f32_e32 v6, -1.0, v9
	v_fma_f32 v6, v6, s14, 1.0
	v_mul_f32_e32 v9, 0x40490e56, v6
	v_and_b32_e32 v18, 0x7fffffff, v9
	v_cmp_nlt_f32_e64 s[0:1], |v9|, s25
                                        ; implicit-def: $vgpr6
	s_and_saveexec_b64 s[2:3], s[0:1]
	s_xor_b64 s[8:9], exec, s[2:3]
	s_cbranch_execz .LBB1_9
; %bb.8:                                ;   in Loop: Header=BB1_7 Depth=1
	v_lshrrev_b32_e32 v6, 23, v18
	v_add_u32_e32 v6, 0xffffff88, v6
	v_cmp_lt_u32_e64 s[0:1], 63, v6
	s_nop 1
	v_cndmask_b32_e64 v19, 0, v16, s[0:1]
	v_add_u32_e32 v6, v19, v6
	v_cmp_lt_u32_e64 s[2:3], 31, v6
	s_nop 1
	v_cndmask_b32_e64 v19, 0, v17, s[2:3]
	v_add_u32_e32 v6, v19, v6
	v_cmp_lt_u32_e64 s[4:5], 31, v6
	s_nop 1
	v_cndmask_b32_e64 v19, 0, v17, s[4:5]
	v_add_u32_e32 v19, v19, v6
	v_and_b32_e32 v6, 0x7fffff, v18
	v_or_b32_e32 v32, 0x800000, v6
	v_mad_u64_u32 v[20:21], s[6:7], v32, s26, 0
	v_mov_b32_e32 v6, v21
	v_mad_u64_u32 v[22:23], s[6:7], v32, s27, v[6:7]
	v_mov_b32_e32 v6, v23
	;; [unrolled: 2-line block ×6, first 2 shown]
	v_mad_u64_u32 v[32:33], s[6:7], v32, s33, v[6:7]
	v_cndmask_b32_e64 v21, v30, v26, s[0:1]
	v_cndmask_b32_e64 v6, v32, v28, s[0:1]
	;; [unrolled: 1-line block ×7, first 2 shown]
	v_sub_u32_e32 v27, 32, v19
	v_cmp_eq_u32_e64 s[6:7], 0, v19
	v_cndmask_b32_e64 v19, v26, v22, s[0:1]
	v_cndmask_b32_e64 v6, v6, v23, s[4:5]
	v_cndmask_b32_e64 v23, v23, v21, s[4:5]
	v_cndmask_b32_e64 v22, v25, v19, s[2:3]
	v_alignbit_b32 v28, v6, v23, v27
	v_cndmask_b32_e64 v21, v21, v22, s[4:5]
	v_cndmask_b32_e64 v6, v28, v6, s[6:7]
	v_alignbit_b32 v25, v23, v21, v27
	v_cndmask_b32_e64 v23, v25, v23, s[6:7]
	v_bfe_u32 v28, v6, 29, 1
	v_cndmask_b32_e64 v20, v24, v20, s[0:1]
	v_alignbit_b32 v25, v6, v23, 30
	v_sub_u32_e32 v29, 0, v28
	v_cndmask_b32_e64 v19, v19, v20, s[2:3]
	v_xor_b32_e32 v30, v25, v29
	v_cndmask_b32_e64 v19, v22, v19, s[4:5]
	v_alignbit_b32 v20, v21, v19, v27
	v_ffbh_u32_e32 v22, v30
	v_cndmask_b32_e64 v20, v20, v21, s[6:7]
	v_add_u32_e32 v22, 1, v22
	v_cmp_ne_u32_e64 s[0:1], v25, v29
	v_alignbit_b32 v21, v23, v20, 30
	v_alignbit_b32 v19, v20, v19, 30
	v_cndmask_b32_e64 v22, 33, v22, s[0:1]
	v_xor_b32_e32 v21, v21, v29
	v_sub_u32_e32 v23, 32, v22
	v_xor_b32_e32 v19, v19, v29
	v_alignbit_b32 v24, v30, v21, v23
	v_alignbit_b32 v19, v21, v19, v23
	;; [unrolled: 1-line block ×3, first 2 shown]
	v_ffbh_u32_e32 v21, v20
	v_min_u32_e32 v21, 32, v21
	v_lshrrev_b32_e32 v26, 29, v6
	v_sub_u32_e32 v23, 31, v21
	v_alignbit_b32 v19, v20, v19, v23
	v_lshlrev_b32_e32 v20, 31, v26
	v_or_b32_e32 v23, 0x33800000, v20
	v_add_lshl_u32 v21, v21, v22, 23
	v_lshrrev_b32_e32 v19, 9, v19
	v_sub_u32_e32 v21, v23, v21
	v_or_b32_e32 v19, v21, v19
	v_alignbit_b32 v21, v22, v24, 9
	v_or_b32_e32 v20, v21, v20
	v_xor_b32_e32 v20, 1.0, v20
	v_mul_f32_e32 v21, 0x3fc90fda, v20
	v_fma_f32 v22, v20, s34, -v21
	v_fmac_f32_e32 v22, 0x33a22168, v20
	v_fmac_f32_e32 v22, 0x3fc90fda, v19
	v_lshrrev_b32_e32 v6, 30, v6
	v_add_f32_e32 v19, v21, v22
	v_add_u32_e32 v6, v28, v6
.LBB1_9:                                ;   in Loop: Header=BB1_7 Depth=1
	s_andn2_saveexec_b64 s[0:1], s[8:9]
	s_cbranch_execz .LBB1_6
; %bb.10:                               ;   in Loop: Header=BB1_7 Depth=1
	v_mul_f32_e64 v6, |v9|, s35
	v_rndne_f32_e32 v20, v6
	v_cvt_i32_f32_e32 v6, v20
	v_fma_f32 v19, v20, s36, |v9|
	v_fmac_f32_e32 v19, 0xb3a22168, v20
	v_fmac_f32_e32 v19, 0xa7c234c4, v20
	s_branch .LBB1_6
.LBB1_11:
	scratch_load_dword v4, off, off offset:128
	scratch_load_dword v7, off, off offset:244
	v_mov_b32_e32 v6, 1.0
	s_brev_b32 s0, 18
                                        ; implicit-def: $vgpr8
                                        ; implicit-def: $vgpr9
	s_waitcnt vmcnt(1)
	v_add_f32_e32 v4, -1.0, v4
	v_fmamk_f32 v4, v4, 0x3e800000, v6
	v_mul_f32_e32 v4, 0x40490e56, v4
	v_and_b32_e32 v6, 0x7fffffff, v4
	v_cmp_nlt_f32_e64 s[0:1], |v4|, s0
	s_and_saveexec_b64 s[2:3], s[0:1]
	s_xor_b64 s[8:9], exec, s[2:3]
	s_cbranch_execz .LBB1_13
; %bb.12:
	v_lshrrev_b32_e32 v8, 23, v6
	v_add_u32_e32 v8, 0xffffff88, v8
	v_not_b32_e32 v11, 63
	v_cmp_lt_u32_e64 s[0:1], 63, v8
	s_mov_b32 s6, 0xfe5163ab
	v_mov_b32_e32 v9, 0
	v_cndmask_b32_e64 v11, 0, v11, s[0:1]
	v_add_u32_e32 v8, v11, v8
	v_not_b32_e32 v11, 31
	v_cmp_lt_u32_e64 s[2:3], 31, v8
	s_nop 1
	v_cndmask_b32_e64 v12, 0, v11, s[2:3]
	v_add_u32_e32 v8, v12, v8
	v_cmp_lt_u32_e64 s[4:5], 31, v8
	s_nop 1
	v_cndmask_b32_e64 v11, 0, v11, s[4:5]
	v_add_u32_e32 v11, v11, v8
	v_and_b32_e32 v8, 0x7fffff, v6
	v_or_b32_e32 v24, 0x800000, v8
	v_mad_u64_u32 v[12:13], s[6:7], v24, s6, 0
	v_mov_b32_e32 v8, v13
	s_mov_b32 s6, 0x3c439041
	v_mad_u64_u32 v[14:15], s[6:7], v24, s6, v[8:9]
	v_mov_b32_e32 v8, v15
	s_mov_b32 s6, 0xdb629599
	;; [unrolled: 3-line block ×6, first 2 shown]
	v_mad_u64_u32 v[8:9], s[6:7], v24, s6, v[8:9]
	v_cndmask_b32_e64 v13, v22, v18, s[0:1]
	v_cndmask_b32_e64 v8, v8, v20, s[0:1]
	;; [unrolled: 1-line block ×7, first 2 shown]
	v_sub_u32_e32 v17, 32, v11
	v_cmp_eq_u32_e64 s[6:7], 0, v11
	v_cndmask_b32_e64 v11, v18, v14, s[0:1]
	v_cndmask_b32_e64 v8, v8, v15, s[4:5]
	;; [unrolled: 1-line block ×4, first 2 shown]
	v_alignbit_b32 v19, v8, v15, v17
	v_cndmask_b32_e64 v13, v13, v9, s[4:5]
	v_cndmask_b32_e64 v8, v19, v8, s[6:7]
	v_alignbit_b32 v14, v15, v13, v17
	v_cndmask_b32_e64 v12, v16, v12, s[0:1]
	v_cndmask_b32_e64 v14, v14, v15, s[6:7]
	v_bfe_u32 v19, v8, 29, 1
	v_cndmask_b32_e64 v11, v11, v12, s[2:3]
	v_alignbit_b32 v15, v8, v14, 30
	v_sub_u32_e32 v20, 0, v19
	v_cndmask_b32_e64 v9, v9, v11, s[4:5]
	v_xor_b32_e32 v21, v15, v20
	v_alignbit_b32 v11, v13, v9, v17
	v_cndmask_b32_e64 v11, v11, v13, s[6:7]
	v_ffbh_u32_e32 v13, v21
	v_add_u32_e32 v13, 1, v13
	v_cmp_ne_u32_e64 s[0:1], v15, v20
	v_alignbit_b32 v12, v14, v11, 30
	v_alignbit_b32 v9, v11, v9, 30
	v_cndmask_b32_e64 v13, 33, v13, s[0:1]
	v_xor_b32_e32 v12, v12, v20
	v_sub_u32_e32 v14, 32, v13
	v_xor_b32_e32 v9, v9, v20
	v_alignbit_b32 v15, v21, v12, v14
	v_alignbit_b32 v9, v12, v9, v14
	;; [unrolled: 1-line block ×3, first 2 shown]
	v_ffbh_u32_e32 v12, v11
	v_min_u32_e32 v12, 32, v12
	v_lshrrev_b32_e32 v18, 29, v8
	v_sub_u32_e32 v14, 31, v12
	v_alignbit_b32 v9, v11, v9, v14
	v_lshlrev_b32_e32 v11, 31, v18
	v_or_b32_e32 v14, 0x33800000, v11
	v_add_lshl_u32 v12, v12, v13, 23
	v_lshrrev_b32_e32 v9, 9, v9
	v_sub_u32_e32 v12, v14, v12
	v_or_b32_e32 v9, v12, v9
	v_alignbit_b32 v12, v13, v15, 9
	v_or_b32_e32 v11, v12, v11
	v_xor_b32_e32 v11, 1.0, v11
	s_mov_b32 s0, 0x3fc90fda
	v_mul_f32_e32 v12, 0x3fc90fda, v11
	v_fma_f32 v13, v11, s0, -v12
	v_fmamk_f32 v11, v11, 0x33a22168, v13
	v_fmac_f32_e32 v11, 0x3fc90fda, v9
	v_lshrrev_b32_e32 v8, 30, v8
	v_add_f32_e32 v9, v12, v11
	v_add_u32_e32 v8, v19, v8
.LBB1_13:
	s_andn2_saveexec_b64 s[0:1], s[8:9]
; %bb.14:
	s_mov_b32 s2, 0x3f22f983
	v_mul_f32_e64 v8, |v4|, s2
	v_rndne_f32_e32 v9, v8
	s_mov_b32 s2, 0xbfc90fda
	v_cvt_i32_f32_e32 v8, v9
	v_fma_f32 v11, v9, s2, |v4|
	v_fmamk_f32 v11, v9, 0xb3a22168, v11
	v_fmamk_f32 v9, v9, 0xa7c234c4, v11
; %bb.15:
	s_or_b64 exec, exec, s[0:1]
	v_mul_f32_e32 v13, v9, v9
	v_mov_b32_e32 v11, 0x3c0881c4
	v_fmamk_f32 v12, v13, 0xb94c1982, v11
	v_fmaak_f32 v12, v13, v12, 0xbe2aaa9d
	v_mul_f32_e32 v12, v13, v12
                                        ; implicit-def: $vgpr14
	v_fmac_f32_e32 v9, v9, v12
	v_mov_b32_e32 v12, 0xbab64f3b
	v_fmamk_f32 v14, v13, 0x37d75334, v12
	v_fmaak_f32 v14, v13, v14, 0x3d2aabf7
	v_fmaak_f32 v14, v13, v14, 0xbf000004
	v_fma_f32 v13, v13, v14, 1.0
	v_and_b32_e32 v14, 1, v8
	v_lshlrev_b32_e32 v8, 30, v8
	v_cmp_eq_u32_e64 s[0:1], 0, v14
	v_and_b32_e32 v8, 0x80000000, v8
	v_xor_b32_e32 v6, v6, v4
	s_waitcnt vmcnt(0)
	v_add_f32_e32 v7, -1.0, v7
	s_mov_b32 s14, 0x3e800000
	v_cndmask_b32_e64 v9, v13, v9, s[0:1]
	v_xor_b32_e32 v6, v6, v8
	s_movk_i32 s16, 0x1f8
	v_fma_f32 v7, v7, s14, 1.0
	v_xor_b32_e32 v8, v6, v9
	v_mov_b32_e32 v13, 0x7fc00000
	v_cmp_class_f32_e64 s[0:1], v4, s16
                                        ; implicit-def: $vgpr15
                                        ; implicit-def: $vgpr15
	v_add_f32_e32 v7, -1.0, v7
	v_frexp_mant_f32_e64 v14, |v7|
	v_cndmask_b32_e64 v6, v13, v8, s[0:1]
	v_cndmask_b32_e64 v8, v13, |v8|, s[0:1]
	v_frexp_mant_f32_e32 v15, v8
	v_cvt_f64_f32_e32 v[16:17], v8
	s_mov_b32 s17, 0x3f2aaaab
	v_frexp_exp_i32_f64_e32 v4, v[16:17]
	v_cvt_f64_f32_e64 v[16:17], |v7|
	v_cmp_gt_f32_e64 s[0:1], s17, v15
	v_cmp_gt_f32_e64 s[2:3], s17, v14
	v_frexp_exp_i32_f64_e32 v9, v[16:17]
	v_cndmask_b32_e64 v17, 1.0, 2.0, s[0:1]
	v_cndmask_b32_e64 v16, 1.0, 2.0, s[2:3]
	v_pk_mul_f32 v[14:15], v[14:15], v[16:17]
	v_subbrev_co_u32_e64 v4, s[0:1], 0, v4, s[0:1]
	v_pk_add_f32 v[16:17], v[14:15], 1.0 op_sel_hi:[1,0]
	v_cvt_f32_i32_e32 v4, v4
	v_rcp_f32_e32 v19, v17
	v_rcp_f32_e32 v18, v16
	v_pk_add_f32 v[20:21], -1.0, v[16:17] op_sel_hi:[0,1]
	v_pk_add_f32 v[20:21], v[14:15], v[20:21] neg_lo:[0,1] neg_hi:[0,1]
	v_pk_add_f32 v[14:15], -1.0, v[14:15] op_sel_hi:[0,1]
	v_pk_mul_f32 v[22:23], v[14:15], v[18:19]
	v_mov_b32_e32 v29, v15
	v_pk_mul_f32 v[24:25], v[16:17], v[22:23]
	s_mov_b32 s18, 0x3f317218
	v_pk_fma_f32 v[16:17], v[22:23], v[16:17], v[24:25] neg_lo:[0,0,1] neg_hi:[0,0,1]
	v_mov_b32_e32 v30, v25
	v_pk_fma_f32 v[16:17], v[22:23], v[20:21], v[16:17]
	s_movk_i32 s19, 0x204
	v_pk_add_f32 v[20:21], v[24:25], v[16:17]
	s_mov_b32 s20, 0x42b17218
	v_pk_add_f32 v[26:27], v[14:15], v[20:21] neg_lo:[0,1] neg_hi:[0,1]
	v_mov_b32_e32 v28, v21
	v_mov_b32_e32 v31, v27
	v_pk_add_f32 v[28:29], v[28:29], v[30:31] neg_lo:[0,1] neg_hi:[0,1]
	v_mov_b32_e32 v31, v21
	v_mov_b32_e32 v21, v14
	;; [unrolled: 1-line block ×4, first 2 shown]
	v_pk_add_f32 v[14:15], v[20:21], v[24:25] neg_lo:[0,1] neg_hi:[0,1]
	v_mov_b32_e32 v17, v20
	v_pk_add_f32 v[28:29], v[28:29], v[30:31] neg_lo:[0,1] neg_hi:[0,1]
	v_pk_add_f32 v[14:15], v[14:15], v[16:17] neg_lo:[0,1] neg_hi:[0,1]
	v_mov_b32_e32 v17, v28
	v_mov_b32_e32 v16, v14
	;; [unrolled: 1-line block ×3, first 2 shown]
	v_pk_add_f32 v[14:15], v[16:17], v[28:29]
	v_mul_f32_e32 v28, 0x3f317218, v4
	v_pk_add_f32 v[14:15], v[26:27], v[14:15]
	v_fma_f32 v30, v4, s18, -v28
	v_pk_mul_f32 v[14:15], v[18:19], v[14:15]
	v_fmac_f32_e32 v30, 0xb102e308, v4
	v_pk_add_f32 v[16:17], v[22:23], v[14:15]
	v_subbrev_co_u32_e64 v4, s[0:1], 0, v9, s[2:3]
	v_pk_add_f32 v[18:19], v[16:17], v[22:23] neg_lo:[0,1] neg_hi:[0,1]
	v_cvt_f32_i32_e32 v4, v4
	v_pk_add_f32 v[14:15], v[14:15], v[18:19] neg_lo:[0,1] neg_hi:[0,1]
	v_pk_mul_f32 v[18:19], v[16:17], v[16:17]
	v_pk_add_f32 v[22:23], v[14:15], v[14:15]
	v_pk_fma_f32 v[20:21], v[16:17], v[16:17], v[18:19] neg_lo:[0,0,1] neg_hi:[0,0,1]
	v_mul_f32_e32 v32, 0x3f317218, v4
	v_pk_fma_f32 v[20:21], v[16:17], v[22:23], v[20:21]
	v_fma_f32 v34, v4, s18, -v32
	v_pk_add_f32 v[22:23], v[18:19], v[20:21]
	v_fmac_f32_e32 v34, 0xb102e308, v4
	v_pk_add_f32 v[18:19], v[22:23], v[18:19] neg_lo:[0,1] neg_hi:[0,1]
	v_mov_b32_e32 v4, 0x3e91f4c4
	v_pk_add_f32 v[18:19], v[20:21], v[18:19] neg_lo:[0,1] neg_hi:[0,1]
	v_pk_mul_f32 v[20:21], v[16:17], v[22:23]
	s_mov_b32 s0, 0x3e76c4e1
	v_pk_fma_f32 v[24:25], v[22:23], v[16:17], v[20:21] neg_lo:[0,0,1] neg_hi:[0,0,1]
	v_ldexp_f32 v31, v17, 1
	v_pk_fma_f32 v[24:25], v[22:23], v[14:15], v[24:25]
	v_ldexp_f32 v35, v16, 1
	v_pk_fma_f32 v[24:25], v[18:19], v[16:17], v[24:25]
	s_mov_b32 s2, 0x31739010
	v_pk_add_f32 v[26:27], v[20:21], v[24:25]
	s_mov_b32 s3, 0xbf2aaaaa
	v_pk_add_f32 v[20:21], v[26:27], v[20:21] neg_lo:[0,1] neg_hi:[0,1]
	v_ldexp_f32 v15, v15, 1
	v_pk_add_f32 v[16:17], v[24:25], v[20:21] neg_lo:[0,1] neg_hi:[0,1]
	v_pk_fma_f32 v[20:21], v[22:23], s[0:1], v[4:5] op_sel_hi:[1,0,0]
	s_mov_b32 s0, 0x3ecccdef
	v_pk_fma_f32 v[20:21], v[22:23], v[20:21], s[0:1] op_sel_hi:[1,1,0]
	s_mov_b32 s1, 0x3f2aaaaa
	v_pk_mul_f32 v[24:25], v[22:23], v[20:21]
	v_ldexp_f32 v14, v14, 1
	v_pk_fma_f32 v[22:23], v[22:23], v[20:21], v[24:25] neg_lo:[0,0,1] neg_hi:[0,0,1]
	s_mov_b32 s21, 0x3fb8aa3b
	v_pk_fma_f32 v[18:19], v[18:19], v[20:21], v[22:23]
	s_mov_b32 s22, 0xc2ce8ed0
	v_pk_add_f32 v[20:21], v[24:25], v[18:19]
	s_brev_b32 s24, -2
	v_pk_add_f32 v[22:23], v[20:21], v[24:25] neg_lo:[0,1] neg_hi:[0,1]
	v_mov_b32_e32 v24, v19
	v_mov_b32_e32 v36, v23
	v_pk_add_f32 v[24:25], v[24:25], v[36:37] neg_lo:[0,1] neg_hi:[0,1]
	v_pk_add_f32 v[36:37], v[20:21], s[0:1]
	v_mov_b32_e32 v9, v20
	v_mov_b32_e32 v25, v37
	;; [unrolled: 1-line block ×4, first 2 shown]
	v_pk_add_f32 v[18:19], v[18:19], v[22:23] neg_lo:[0,1] neg_hi:[0,1]
	v_pk_add_f32 v[22:23], v[36:37], v[8:9]
	v_pk_add_f32 v[24:25], v[24:25], s[2:3]
	v_mov_b32_e32 v19, v23
	v_pk_add_f32 v[18:19], v[18:19], s[2:3]
	v_mov_b32_e32 v23, v25
	v_mov_b32_e32 v22, v19
	v_pk_add_f32 v[22:23], v[20:21], v[22:23] neg_lo:[0,1] neg_hi:[0,1]
	v_mov_b32_e32 v19, v24
	s_mov_b32 s0, s1
	v_pk_add_f32 v[18:19], v[18:19], v[22:23]
	v_pk_add_f32 v[20:21], v[20:21], s[0:1] op_sel_hi:[1,0]
	v_cmp_eq_f32_e64 s[0:1], 1.0, v6
	v_pk_add_f32 v[22:23], v[20:21], v[18:19]
	s_mov_b32 s23, 0x7f800000
	v_pk_mul_f32 v[24:25], v[26:27], v[22:23]
	v_pk_add_f32 v[20:21], v[20:21], v[22:23] neg_lo:[0,1] neg_hi:[0,1]
	v_cmp_eq_f32_e64 s[8:9], 0, v7
	v_pk_add_f32 v[18:19], v[18:19], v[20:21]
	v_pk_fma_f32 v[20:21], v[26:27], v[22:23], v[24:25] neg_lo:[0,0,1] neg_hi:[0,0,1]
	v_cmp_class_f32_e64 s[26:27], v7, s19
	v_pk_fma_f32 v[18:19], v[26:27], v[18:19], v[20:21]
	s_mov_b32 s15, 0
	v_pk_fma_f32 v[16:17], v[16:17], v[22:23], v[18:19]
	s_brev_b32 s25, 18
	v_pk_add_f32 v[18:19], v[24:25], v[16:17]
	s_mov_b32 s28, 0xdb629599
	v_pk_add_f32 v[22:23], v[18:19], v[24:25] neg_lo:[0,1] neg_hi:[0,1]
	v_mov_b32_e32 v29, v19
	v_pk_add_f32 v[16:17], v[16:17], v[22:23] neg_lo:[0,1] neg_hi:[0,1]
	v_mov_b32_e32 v33, v18
	v_pk_add_f32 v[20:21], v[28:29], v[30:31]
	v_pk_add_f32 v[14:15], v[14:15], v[16:17]
	;; [unrolled: 1-line block ×3, first 2 shown]
	v_mov_b32_e32 v23, v21
	v_mov_b32_e32 v22, v17
	;; [unrolled: 1-line block ×4, first 2 shown]
	v_pk_add_f32 v[24:25], v[22:23], v[24:25] neg_lo:[0,1] neg_hi:[0,1]
	v_mov_b32_e32 v9, v20
	v_pk_add_f32 v[18:19], v[18:19], v[24:25] neg_lo:[0,1] neg_hi:[0,1]
	s_mov_b32 s29, 0xf534ddc0
	v_pk_add_f32 v[14:15], v[14:15], v[18:19]
	s_mov_b32 s30, 0xfc2757d1
	v_mov_b32_e32 v29, v15
	v_pk_add_f32 v[18:19], v[20:21], v[28:29] neg_lo:[0,1] neg_hi:[0,1]
	v_mov_b32_e32 v33, v14
	v_pk_add_f32 v[24:25], v[20:21], v[28:29]
	v_pk_add_f32 v[18:19], v[30:31], v[18:19] neg_lo:[0,1] neg_hi:[0,1]
	v_pk_add_f32 v[30:31], v[16:17], v[32:33]
	v_pk_add_f32 v[26:27], v[8:9], v[24:25]
	v_mov_b32_e32 v24, v31
	v_pk_add_f32 v[28:29], v[16:17], v[32:33] neg_lo:[0,1] neg_hi:[0,1]
	v_pk_add_f32 v[22:23], v[24:25], v[22:23] neg_lo:[0,1] neg_hi:[0,1]
	v_mov_b32_e32 v9, v16
	v_pk_add_f32 v[14:15], v[14:15], v[22:23] neg_lo:[0,1] neg_hi:[0,1]
	v_pk_add_f32 v[22:23], v[34:35], v[28:29] neg_lo:[0,1] neg_hi:[0,1]
	v_pk_add_f32 v[28:29], v[8:9], v[30:31]
	v_mov_b32_e32 v17, v20
	v_mov_b32_e32 v26, v29
	v_pk_add_f32 v[20:21], v[26:27], v[16:17] neg_lo:[0,1] neg_hi:[0,1]
	v_mov_b32_e32 v23, v29
	v_pk_add_f32 v[28:29], v[26:27], v[20:21] neg_lo:[0,1] neg_hi:[0,1]
	v_pk_add_f32 v[20:21], v[24:25], v[20:21] neg_lo:[0,1] neg_hi:[0,1]
	;; [unrolled: 1-line block ×3, first 2 shown]
	v_mov_b32_e32 v19, v27
	v_pk_add_f32 v[16:17], v[20:21], v[16:17]
	v_mov_b32_e32 v20, v22
	v_mov_b32_e32 v21, v18
	v_pk_add_f32 v[24:25], v[20:21], v[14:15]
	v_mov_b32_e32 v9, 0x204
	v_pk_add_f32 v[16:17], v[24:25], v[16:17]
	v_mov_b32_e32 v28, v25
	v_pk_add_f32 v[26:27], v[26:27], v[16:17]
	v_mov_b32_e32 v30, v24
	v_mov_b32_e32 v29, v27
	;; [unrolled: 1-line block ×3, first 2 shown]
	v_pk_add_f32 v[18:19], v[28:29], v[18:19] neg_lo:[0,1] neg_hi:[0,1]
	v_pk_add_f32 v[22:23], v[30:31], v[22:23] neg_lo:[0,1] neg_hi:[0,1]
	v_mov_b32_e32 v28, v15
	v_mov_b32_e32 v29, v17
	;; [unrolled: 1-line block ×5, first 2 shown]
	v_pk_add_f32 v[28:29], v[28:29], v[18:19] neg_lo:[0,1] neg_hi:[0,1]
	v_pk_add_f32 v[18:19], v[24:25], v[30:31] neg_lo:[0,1] neg_hi:[0,1]
	;; [unrolled: 1-line block ×4, first 2 shown]
	v_mov_b32_e32 v16, v14
	v_mov_b32_e32 v17, v28
	v_pk_add_f32 v[16:17], v[16:17], v[18:19]
	v_mov_b32_e32 v28, v15
	v_pk_add_f32 v[14:15], v[16:17], v[28:29]
	v_cndmask_b32_e64 v21, 2.0, 1.0, s[0:1]
	v_cmp_eq_f32_e64 s[0:1], 1.0, v7
	v_pk_add_f32 v[16:17], v[26:27], v[14:15]
	s_mov_b32 s31, 0x4e441529
	v_cndmask_b32_e64 v20, 2.0, 1.0, s[0:1]
	v_pk_add_f32 v[18:19], v[16:17], v[26:27] neg_lo:[0,1] neg_hi:[0,1]
	v_pk_mul_f32 v[22:23], v[20:21], v[16:17]
	v_pk_add_f32 v[14:15], v[14:15], v[18:19] neg_lo:[0,1] neg_hi:[0,1]
	v_pk_fma_f32 v[16:17], v[20:21], v[16:17], v[22:23] neg_lo:[0,0,1] neg_hi:[0,0,1]
	v_cmp_class_f32_e64 s[0:1], v23, s19
	v_pk_fma_f32 v[14:15], v[20:21], v[14:15], v[16:17]
	s_mov_b32 s33, 0xa2f9836e
	v_pk_add_f32 v[16:17], v[22:23], v[14:15]
	s_mov_b32 s34, 0x3fc90fda
	v_pk_add_f32 v[18:19], v[16:17], v[22:23] neg_lo:[0,1] neg_hi:[0,1]
	v_cndmask_b32_e64 v17, v17, v23, s[0:1]
	v_cmp_class_f32_e64 s[0:1], v22, s19
	v_pk_add_f32 v[18:19], v[14:15], v[18:19] neg_lo:[0,1] neg_hi:[0,1]
	v_mov_b32_e32 v14, 0x37000000
	v_cndmask_b32_e64 v16, v16, v22, s[0:1]
	v_cmp_class_f32_e64 s[0:1], v17, v9
	s_mov_b32 s35, 0x3f22f983
	s_mov_b32 s36, 0xbfc90fda
	v_cndmask_b32_e64 v19, v19, 0, s[0:1]
	v_cmp_eq_f32_e64 s[0:1], s20, v17
	s_mov_b32 s37, 0x41200000
	s_nop 0
	v_cndmask_b32_e64 v23, 0, v14, s[0:1]
	v_cmp_eq_f32_e64 s[0:1], s20, v16
	s_nop 1
	v_cndmask_b32_e64 v22, 0, v14, s[0:1]
	v_pk_add_f32 v[24:25], v[16:17], v[22:23] neg_lo:[0,1] neg_hi:[0,1]
	v_cmp_class_f32_e64 s[0:1], v16, v9
	v_mul_f32_e32 v15, 0x3fb8aa3b, v25
	v_fma_f32 v17, v25, s21, -v15
	v_rndne_f32_e32 v26, v15
	v_fmac_f32_e32 v17, 0x32a5705f, v25
	v_sub_f32_e32 v15, v15, v26
	v_add_f32_e32 v15, v15, v17
	v_exp_f32_e32 v15, v15
	v_cvt_i32_f32_e32 v26, v26
	v_cndmask_b32_e64 v18, v18, 0, s[0:1]
	v_cmp_ngt_f32_e64 s[0:1], s22, v25
	v_pk_add_f32 v[16:17], v[22:23], v[18:19]
	v_ldexp_f32 v15, v15, v26
	v_cndmask_b32_e64 v18, 0, v15, s[0:1]
	v_mul_f32_e32 v15, 0x3fb8aa3b, v24
	v_fma_f32 v19, v24, s21, -v15
	v_rndne_f32_e32 v22, v15
	v_fmac_f32_e32 v19, 0x32a5705f, v24
	v_sub_f32_e32 v15, v15, v22
	v_add_f32_e32 v15, v15, v19
	v_exp_f32_e32 v23, v15
	v_cvt_i32_f32_e32 v22, v22
	v_mov_b32_e32 v15, 0x7f800000
	v_cmp_nlt_f32_e64 s[0:1], s20, v25
	s_nop 1
	v_cndmask_b32_e64 v19, v15, v18, s[0:1]
	v_ldexp_f32 v18, v23, v22
	v_cmp_ngt_f32_e64 s[0:1], s22, v24
	s_nop 1
	v_cndmask_b32_e64 v18, 0, v18, s[0:1]
	v_cmp_nlt_f32_e64 s[0:1], s20, v24
	s_nop 1
	v_cndmask_b32_e64 v18, v15, v18, s[0:1]
	v_pk_fma_f32 v[16:17], v[18:19], v[16:17], v[18:19]
	v_cmp_class_f32_e64 s[0:1], v18, v9
	s_nop 1
	v_cndmask_b32_e64 v18, v16, v18, s[0:1]
	v_cmp_class_f32_e64 s[0:1], v19, v9
	v_trunc_f32_e32 v16, v21
	s_nop 0
	v_cndmask_b32_e64 v9, v17, v19, s[0:1]
	v_trunc_f32_e32 v17, v20
	v_cmp_eq_f32_e64 s[0:1], v16, v21
	v_cmp_eq_f32_e64 s[2:3], v17, v20
	v_pk_mul_f32 v[16:17], v[20:21], 0.5 op_sel_hi:[1,0]
	s_nop 0
	v_trunc_f32_e32 v19, v17
	v_trunc_f32_e32 v20, v16
	v_cmp_neq_f32_e64 s[6:7], v19, v17
	v_cmp_neq_f32_e64 s[4:5], v20, v16
	s_and_b64 s[6:7], s[0:1], s[6:7]
	v_cndmask_b32_e64 v16, 1.0, v6, s[6:7]
	s_and_b64 s[4:5], s[2:3], s[4:5]
	v_cndmask_b32_e64 v17, 1.0, v7, s[4:5]
	v_bfi_b32 v9, s24, v9, v16
	v_bfi_b32 v16, s24, v18, v17
	v_cndmask_b32_e64 v18, v13, v9, s[0:1]
	v_cmp_gt_f32_e64 s[0:1], 0, v6
	v_cndmask_b32_e64 v17, v13, v16, s[2:3]
	v_cmp_eq_f32_e64 s[2:3], 0, v6
	v_cndmask_b32_e64 v9, v9, v18, s[0:1]
	v_cmp_gt_f32_e64 s[0:1], 0, v7
	v_cndmask_b32_e64 v18, 0, v6, s[6:7]
	v_cndmask_b32_e64 v19, 0, v7, s[4:5]
	v_cndmask_b32_e64 v16, v16, v17, s[0:1]
	v_cmp_eq_f32_e64 s[0:1], s23, v8
	v_cndmask_b32_e64 v8, v15, 0, s[2:3]
	v_cndmask_b32_e64 v17, v15, 0, s[8:9]
	v_bfi_b32 v8, s24, v8, v18
	s_or_b64 s[0:1], s[2:3], s[0:1]
	v_bfi_b32 v17, s24, v17, v19
	s_or_b64 s[4:5], s[26:27], s[8:9]
	v_cndmask_b32_e64 v8, v9, v8, s[0:1]
	v_cmp_o_f32_e64 s[0:1], v6, v6
	v_cndmask_b32_e64 v16, v16, v17, s[4:5]
	s_mov_b32 s26, 0xfe5163ab
	v_cndmask_b32_e64 v6, v13, v8, s[0:1]
	v_cmp_o_f32_e64 s[0:1], v7, v7
	s_mov_b32 s27, 0x3c439041
	v_not_b32_e32 v17, 63
	v_cndmask_b32_e64 v7, v13, v16, s[0:1]
	v_add_f32_e32 v16, v7, v6
	v_mov_b32_e32 v7, 0
	v_not_b32_e32 v18, 31
                                        ; implicit-def: $vgpr6
	s_branch .LBB1_17
.LBB1_16:                               ;   in Loop: Header=BB1_17 Depth=1
	s_or_b64 exec, exec, s[0:1]
	v_add_f32_e32 v8, -1.0, v8
	v_fma_f32 v8, v8, s14, 1.0
	v_add_f32_e32 v38, -1.0, v8
	v_cmp_eq_f32_e64 s[0:1], 1.0, v38
	v_frexp_mant_f32_e64 v8, |v38|
	v_cmp_class_f32_e64 s[4:5], v38, s19
	v_cndmask_b32_e64 v39, 2.0, 1.0, s[0:1]
	v_cmp_gt_f32_e64 s[0:1], s17, v8
	v_xor_b32_e32 v19, v19, v9
	s_add_i32 s15, s15, 4
	v_cndmask_b32_e64 v21, 1.0, 2.0, s[0:1]
	v_mul_f32_e32 v8, v8, v21
	v_add_f32_e32 v21, 1.0, v8
	v_rcp_f32_e32 v30, v21
	v_add_f32_e32 v22, -1.0, v21
	v_add_f32_e32 v23, -1.0, v8
	v_sub_f32_e32 v22, v8, v22
	v_mul_f32_e32 v8, v23, v30
	v_mul_f32_e32 v24, v21, v8
	v_fma_f32 v26, v8, v21, -v24
	v_fmac_f32_e32 v26, v8, v22
	v_add_f32_e32 v22, v24, v26
	v_sub_f32_e32 v25, v23, v22
	v_pk_add_f32 v[28:29], v[22:23], v[24:25] neg_lo:[0,1] neg_hi:[0,1]
	v_mov_b32_e32 v27, v22
	v_pk_add_f32 v[22:23], v[28:29], v[26:27] neg_lo:[0,1] neg_hi:[0,1]
	s_nop 0
	v_add_f32_e32 v21, v22, v23
	v_add_f32_e32 v21, v25, v21
	v_mul_f32_e32 v21, v30, v21
	v_add_f32_e32 v22, v8, v21
	v_sub_f32_e32 v8, v22, v8
	v_sub_f32_e32 v21, v21, v8
	v_mul_f32_e32 v8, v22, v22
	v_fma_f32 v23, v22, v22, -v8
	v_add_f32_e32 v24, v21, v21
	v_fmac_f32_e32 v23, v22, v24
	v_add_f32_e32 v24, v8, v23
	v_fmamk_f32 v25, v24, 0x3e76c4e1, v4
	v_fmaak_f32 v25, v24, v25, 0x3ecccdef
	v_sub_f32_e32 v8, v24, v8
	v_sub_f32_e32 v8, v23, v8
	v_mul_f32_e32 v23, v24, v25
	v_fma_f32 v26, v24, v25, -v23
	v_fmac_f32_e32 v26, v8, v25
	v_add_f32_e32 v25, v23, v26
	v_add_f32_e32 v27, 0x3f2aaaaa, v25
	v_sub_f32_e32 v23, v25, v23
	v_sub_f32_e32 v23, v26, v23
	v_add_f32_e32 v26, 0xbf2aaaaa, v27
	v_add_f32_e32 v23, 0x31739010, v23
	v_sub_f32_e32 v25, v25, v26
	v_pk_mul_f32 v[28:29], v[22:23], v[24:25]
	v_pk_add_f32 v[30:31], v[22:23], v[24:25]
	v_fma_f32 v26, v24, v22, -v28
	v_fmac_f32_e32 v26, v24, v21
	v_mov_b32_e32 v29, v31
	v_fmac_f32_e32 v26, v8, v22
	v_pk_add_f32 v[24:25], v[28:29], v[26:27]
	s_nop 0
	v_sub_f32_e32 v8, v24, v28
	v_sub_f32_e32 v23, v26, v8
	;; [unrolled: 1-line block ×3, first 2 shown]
	v_add_f32_e32 v30, v31, v8
	v_mov_b32_e32 v8, v25
	v_cvt_f64_f32_e64 v[28:29], |v38|
	v_pk_mul_f32 v[26:27], v[24:25], v[8:9]
	v_frexp_exp_i32_f64_e32 v8, v[28:29]
	v_subbrev_co_u32_e64 v8, s[0:1], 0, v8, s[0:1]
	v_cvt_f32_i32_e32 v8, v8
	v_fma_f32 v28, v24, v25, -v26
	v_fmac_f32_e32 v28, v24, v30
	v_fmac_f32_e32 v28, v23, v25
	v_mul_f32_e32 v24, 0x3f317218, v8
	v_fma_f32 v30, v8, s18, -v24
	v_fmac_f32_e32 v30, 0xb102e308, v8
	v_ldexp_f32 v31, v22, 1
	v_add_f32_e32 v25, v26, v28
	v_pk_add_f32 v[22:23], v[24:25], v[30:31]
	v_mov_b32_e32 v32, v25
	v_mov_b32_e32 v33, v23
	;; [unrolled: 1-line block ×3, first 2 shown]
	v_pk_add_f32 v[26:27], v[32:33], v[26:27] neg_lo:[0,1] neg_hi:[0,1]
	v_mov_b32_e32 v29, v25
	v_ldexp_f32 v8, v21, 1
	v_pk_add_f32 v[26:27], v[28:29], v[26:27] neg_lo:[0,1] neg_hi:[0,1]
	v_mov_b32_e32 v31, v22
	v_add_f32_e32 v8, v8, v26
	v_add_f32_e32 v25, v8, v27
	v_pk_add_f32 v[26:27], v[22:23], v[24:25] neg_lo:[0,1] neg_hi:[0,1]
	v_pk_add_f32 v[28:29], v[22:23], v[24:25]
	v_mov_b32_e32 v32, v26
	v_mov_b32_e32 v33, v29
	v_pk_add_f32 v[32:33], v[30:31], v[32:33]
	v_pk_add_f32 v[26:27], v[30:31], v[26:27] neg_lo:[0,1] neg_hi:[0,1]
	v_mov_b32_e32 v8, v33
	v_pk_add_f32 v[34:35], v[8:9], v[22:23] neg_lo:[0,1] neg_hi:[0,1]
	v_mov_b32_e32 v32, v29
	v_mov_b32_e32 v21, v34
	;; [unrolled: 1-line block ×4, first 2 shown]
	v_pk_add_f32 v[36:37], v[28:29], v[20:21] neg_lo:[0,1] neg_hi:[0,1]
	v_pk_add_f32 v[22:23], v[32:33], v[22:23] neg_lo:[0,1] neg_hi:[0,1]
	v_mov_b32_e32 v30, v25
	v_pk_add_f32 v[22:23], v[30:31], v[22:23] neg_lo:[0,1] neg_hi:[0,1]
	v_mov_b32_e32 v36, v26
	v_pk_add_f32 v[24:25], v[36:37], v[22:23]
	v_mov_b32_e32 v27, v33
	v_mov_b32_e32 v28, v25
	v_pk_add_f32 v[28:29], v[24:25], v[28:29]
	s_nop 0
	v_pk_add_f32 v[30:31], v[8:9], v[28:29]
	v_mov_b32_e32 v23, v28
	v_mov_b32_e32 v25, v30
	v_pk_add_f32 v[32:33], v[24:25], v[26:27] neg_lo:[0,1] neg_hi:[0,1]
	s_nop 0
	v_sub_f32_e32 v8, v24, v32
	v_pk_add_f32 v[22:23], v[22:23], v[32:33] neg_lo:[0,1] neg_hi:[0,1]
	v_sub_f32_e32 v8, v26, v8
	v_add_f32_e32 v8, v22, v8
	v_add_f32_e32 v8, v8, v23
	;; [unrolled: 1-line block ×3, first 2 shown]
	v_sub_f32_e32 v22, v21, v30
	v_sub_f32_e32 v8, v8, v22
	v_mul_f32_e32 v22, v39, v21
	v_fma_f32 v21, v39, v21, -v22
	v_fmac_f32_e32 v21, v39, v8
	v_add_f32_e32 v8, v22, v21
	v_cmp_class_f32_e64 s[0:1], v22, s19
	v_sub_f32_e32 v23, v8, v22
	v_sub_f32_e32 v21, v21, v23
	v_cndmask_b32_e64 v8, v8, v22, s[0:1]
	v_cmp_eq_f32_e64 s[0:1], s20, v8
	s_nop 1
	v_cndmask_b32_e64 v22, 0, v14, s[0:1]
	v_sub_f32_e32 v23, v8, v22
	v_mul_f32_e32 v24, 0x3fb8aa3b, v23
	v_fma_f32 v25, v23, s21, -v24
	v_rndne_f32_e32 v26, v24
	v_fmac_f32_e32 v25, 0x32a5705f, v23
	v_sub_f32_e32 v24, v24, v26
	v_add_f32_e32 v24, v24, v25
	v_exp_f32_e32 v24, v24
	v_cvt_i32_f32_e32 v25, v26
	v_cmp_neq_f32_e64 s[0:1], |v8|, s23
	s_nop 1
	v_cndmask_b32_e64 v8, 0, v21, s[0:1]
	v_ldexp_f32 v21, v24, v25
	v_cmp_ngt_f32_e64 s[0:1], s22, v23
	v_add_f32_e32 v8, v22, v8
	s_nop 0
	v_cndmask_b32_e64 v21, 0, v21, s[0:1]
	v_cmp_nlt_f32_e64 s[0:1], s20, v23
	s_nop 1
	v_cndmask_b32_e64 v21, v15, v21, s[0:1]
	v_fma_f32 v8, v21, v8, v21
	v_cmp_class_f32_e64 s[0:1], v21, s19
	s_nop 1
	v_cndmask_b32_e64 v8, v8, v21, s[0:1]
	v_trunc_f32_e32 v21, v39
	v_cmp_eq_f32_e64 s[0:1], v21, v39
	v_mul_f32_e32 v21, 0.5, v39
	v_trunc_f32_e32 v22, v21
	v_cmp_neq_f32_e64 s[2:3], v22, v21
	s_and_b64 s[2:3], s[0:1], s[2:3]
	s_nop 0
	v_cndmask_b32_e64 v21, 1.0, v38, s[2:3]
	v_bfi_b32 v8, s24, v8, v21
	v_cndmask_b32_e64 v21, v13, v8, s[0:1]
	v_cmp_gt_f32_e64 s[0:1], 0, v38
	v_cndmask_b32_e64 v22, 0, v38, s[2:3]
	s_nop 0
	v_cndmask_b32_e64 v8, v8, v21, s[0:1]
	v_cmp_eq_f32_e64 s[0:1], 0, v38
	s_nop 1
	v_cndmask_b32_e64 v21, v15, 0, s[0:1]
	v_bfi_b32 v21, s24, v21, v22
	s_or_b64 s[0:1], s[0:1], s[4:5]
	v_cndmask_b32_e64 v8, v8, v21, s[0:1]
	v_cmp_o_f32_e64 s[0:1], v38, v38
	s_nop 1
	v_cndmask_b32_e64 v34, v13, v8, s[0:1]
	v_mul_f32_e32 v8, v20, v20
	v_fmamk_f32 v21, v8, 0xb94c1982, v11
	v_fmaak_f32 v21, v8, v21, 0xbe2aaa9d
	v_mul_f32_e32 v21, v8, v21
	v_fmac_f32_e32 v20, v20, v21
	v_fmamk_f32 v21, v8, 0x37d75334, v12
	v_fmaak_f32 v21, v8, v21, 0x3d2aabf7
	v_fmaak_f32 v21, v8, v21, 0xbf000004
	v_fma_f32 v8, v8, v21, 1.0
	v_and_b32_e32 v21, 1, v6
	v_lshlrev_b32_e32 v6, 30, v6
	v_cmp_eq_u32_e64 s[0:1], 0, v21
	v_and_b32_e32 v6, 0x80000000, v6
	v_xor_b32_e32 v6, v19, v6
	v_cndmask_b32_e64 v8, v8, v20, s[0:1]
	v_xor_b32_e32 v6, v6, v8
	v_cmp_class_f32_e64 s[0:1], v9, s16
	s_nop 1
	v_cndmask_b32_e64 v37, v13, |v6|, s[0:1]
	v_cndmask_b32_e64 v35, v13, v6, s[0:1]
	v_frexp_mant_f32_e32 v6, v37
	v_cmp_gt_f32_e64 s[0:1], s17, v6
	v_cmp_eq_f32_e64 s[2:3], 1.0, v35
	v_cmp_eq_f32_e64 s[4:5], 0, v35
	v_cndmask_b32_e64 v8, 1.0, 2.0, s[0:1]
	v_mul_f32_e32 v6, v6, v8
	v_add_f32_e32 v8, 1.0, v6
	v_rcp_f32_e32 v19, v8
	v_add_f32_e32 v9, -1.0, v8
	v_sub_f32_e32 v21, v6, v9
	v_add_f32_e32 v9, -1.0, v6
	v_mul_f32_e32 v6, v9, v19
	v_mul_f32_e32 v20, v8, v6
	v_fma_f32 v22, v6, v8, -v20
	v_fmac_f32_e32 v22, v6, v21
	v_add_f32_e32 v8, v20, v22
	v_sub_f32_e32 v21, v9, v8
	v_pk_add_f32 v[24:25], v[8:9], v[20:21] neg_lo:[0,1] neg_hi:[0,1]
	v_mov_b32_e32 v23, v8
	v_pk_add_f32 v[8:9], v[24:25], v[22:23] neg_lo:[0,1] neg_hi:[0,1]
	v_cndmask_b32_e64 v36, 2.0, 1.0, s[2:3]
	v_add_f32_e32 v8, v8, v9
	v_add_f32_e32 v8, v21, v8
	v_mul_f32_e32 v9, v19, v8
	v_add_f32_e32 v8, v6, v9
	v_sub_f32_e32 v6, v8, v6
	v_sub_f32_e32 v19, v9, v6
	v_mul_f32_e32 v6, v8, v8
	v_fma_f32 v9, v8, v8, -v6
	v_add_f32_e32 v20, v19, v19
	v_fmac_f32_e32 v9, v8, v20
	v_add_f32_e32 v20, v6, v9
	v_fmamk_f32 v21, v20, 0x3e76c4e1, v4
	v_fmaak_f32 v21, v20, v21, 0x3ecccdef
	v_sub_f32_e32 v6, v20, v6
	v_sub_f32_e32 v6, v9, v6
	v_mul_f32_e32 v9, v20, v21
	v_fma_f32 v22, v20, v21, -v9
	v_fmac_f32_e32 v22, v6, v21
	v_add_f32_e32 v21, v9, v22
	v_add_f32_e32 v23, 0x3f2aaaaa, v21
	v_sub_f32_e32 v9, v21, v9
	v_sub_f32_e32 v9, v22, v9
	v_add_f32_e32 v22, 0xbf2aaaaa, v23
	v_add_f32_e32 v9, 0x31739010, v9
	v_sub_f32_e32 v21, v21, v22
	v_pk_mul_f32 v[24:25], v[8:9], v[20:21]
	v_pk_add_f32 v[26:27], v[8:9], v[20:21]
	v_fma_f32 v22, v20, v8, -v24
	v_fmac_f32_e32 v22, v20, v19
	v_mov_b32_e32 v25, v27
	v_fmac_f32_e32 v22, v6, v8
	v_pk_add_f32 v[20:21], v[24:25], v[22:23]
	s_nop 0
	v_sub_f32_e32 v6, v20, v24
	v_sub_f32_e32 v9, v22, v6
	;; [unrolled: 1-line block ×3, first 2 shown]
	v_add_f32_e32 v26, v27, v6
	v_mov_b32_e32 v6, v21
	v_cvt_f64_f32_e32 v[24:25], v37
	v_pk_mul_f32 v[22:23], v[20:21], v[6:7]
	v_frexp_exp_i32_f64_e32 v6, v[24:25]
	v_subbrev_co_u32_e64 v6, s[0:1], 0, v6, s[0:1]
	v_cvt_f32_i32_e32 v6, v6
	v_fma_f32 v24, v20, v21, -v22
	v_fmac_f32_e32 v24, v20, v26
	v_fmac_f32_e32 v24, v9, v21
	v_mul_f32_e32 v20, 0x3f317218, v6
	v_fma_f32 v26, v6, s18, -v20
	v_fmac_f32_e32 v26, 0xb102e308, v6
	v_ldexp_f32 v27, v8, 1
	v_add_f32_e32 v21, v22, v24
	v_pk_add_f32 v[8:9], v[20:21], v[26:27]
	v_mov_b32_e32 v28, v21
	v_mov_b32_e32 v29, v9
	;; [unrolled: 1-line block ×3, first 2 shown]
	v_pk_add_f32 v[22:23], v[28:29], v[22:23] neg_lo:[0,1] neg_hi:[0,1]
	v_mov_b32_e32 v25, v21
	v_ldexp_f32 v6, v19, 1
	v_pk_add_f32 v[22:23], v[24:25], v[22:23] neg_lo:[0,1] neg_hi:[0,1]
	v_mov_b32_e32 v27, v8
	v_add_f32_e32 v6, v6, v22
	v_add_f32_e32 v21, v6, v23
	v_pk_add_f32 v[22:23], v[8:9], v[20:21] neg_lo:[0,1] neg_hi:[0,1]
	v_pk_add_f32 v[24:25], v[8:9], v[20:21]
	v_mov_b32_e32 v28, v22
	v_mov_b32_e32 v29, v25
	v_pk_add_f32 v[28:29], v[26:27], v[28:29]
	v_pk_add_f32 v[22:23], v[26:27], v[22:23] neg_lo:[0,1] neg_hi:[0,1]
	v_mov_b32_e32 v6, v29
	v_pk_add_f32 v[30:31], v[6:7], v[8:9] neg_lo:[0,1] neg_hi:[0,1]
	v_mov_b32_e32 v28, v25
	v_mov_b32_e32 v19, v30
	;; [unrolled: 1-line block ×4, first 2 shown]
	v_pk_add_f32 v[32:33], v[24:25], v[18:19] neg_lo:[0,1] neg_hi:[0,1]
	v_pk_add_f32 v[8:9], v[28:29], v[8:9] neg_lo:[0,1] neg_hi:[0,1]
	v_mov_b32_e32 v26, v21
	v_pk_add_f32 v[8:9], v[26:27], v[8:9] neg_lo:[0,1] neg_hi:[0,1]
	v_mov_b32_e32 v32, v22
	v_pk_add_f32 v[20:21], v[32:33], v[8:9]
	v_mov_b32_e32 v23, v29
	v_mov_b32_e32 v24, v21
	v_pk_add_f32 v[24:25], v[20:21], v[24:25]
	s_nop 0
	v_pk_add_f32 v[26:27], v[6:7], v[24:25]
	v_mov_b32_e32 v9, v24
	v_mov_b32_e32 v21, v26
	v_pk_add_f32 v[28:29], v[20:21], v[22:23] neg_lo:[0,1] neg_hi:[0,1]
	s_nop 0
	v_sub_f32_e32 v6, v20, v28
	v_pk_add_f32 v[8:9], v[8:9], v[28:29] neg_lo:[0,1] neg_hi:[0,1]
	v_sub_f32_e32 v6, v22, v6
	v_add_f32_e32 v6, v8, v6
	v_add_f32_e32 v6, v6, v9
	;; [unrolled: 1-line block ×3, first 2 shown]
	v_sub_f32_e32 v9, v8, v26
	v_sub_f32_e32 v6, v6, v9
	v_mul_f32_e32 v9, v36, v8
	v_fma_f32 v8, v36, v8, -v9
	v_fmac_f32_e32 v8, v36, v6
	v_add_f32_e32 v6, v9, v8
	v_cmp_class_f32_e64 s[0:1], v9, s19
	v_sub_f32_e32 v19, v6, v9
	v_sub_f32_e32 v8, v8, v19
	v_cndmask_b32_e64 v6, v6, v9, s[0:1]
	v_cmp_eq_f32_e64 s[0:1], s20, v6
	s_nop 1
	v_cndmask_b32_e64 v9, 0, v14, s[0:1]
	v_sub_f32_e32 v19, v6, v9
	v_mul_f32_e32 v20, 0x3fb8aa3b, v19
	v_fma_f32 v21, v19, s21, -v20
	v_rndne_f32_e32 v22, v20
	v_fmac_f32_e32 v21, 0x32a5705f, v19
	v_sub_f32_e32 v20, v20, v22
	v_add_f32_e32 v20, v20, v21
	v_exp_f32_e32 v20, v20
	v_cvt_i32_f32_e32 v21, v22
	v_cmp_neq_f32_e64 s[0:1], |v6|, s23
	s_nop 1
	v_cndmask_b32_e64 v6, 0, v8, s[0:1]
	v_ldexp_f32 v8, v20, v21
	v_cmp_ngt_f32_e64 s[0:1], s22, v19
	v_add_f32_e32 v6, v9, v6
	s_nop 0
	v_cndmask_b32_e64 v8, 0, v8, s[0:1]
	v_cmp_nlt_f32_e64 s[0:1], s20, v19
	s_nop 1
	v_cndmask_b32_e64 v8, v15, v8, s[0:1]
	v_fma_f32 v6, v8, v6, v8
	v_cmp_class_f32_e64 s[0:1], v8, s19
	s_nop 1
	v_cndmask_b32_e64 v6, v6, v8, s[0:1]
	v_trunc_f32_e32 v8, v36
	v_cmp_eq_f32_e64 s[0:1], v8, v36
	v_mul_f32_e32 v8, 0.5, v36
	v_trunc_f32_e32 v9, v8
	v_cmp_neq_f32_e64 s[2:3], v9, v8
	s_and_b64 s[2:3], s[0:1], s[2:3]
	s_nop 0
	v_cndmask_b32_e64 v8, 1.0, v35, s[2:3]
	v_bfi_b32 v6, s24, v6, v8
	v_cndmask_b32_e64 v8, v13, v6, s[0:1]
	v_cmp_gt_f32_e64 s[0:1], 0, v35
	v_cndmask_b32_e64 v9, 0, v35, s[2:3]
	s_nop 0
	v_cndmask_b32_e64 v6, v6, v8, s[0:1]
	v_cmp_eq_f32_e64 s[0:1], s23, v37
	v_cndmask_b32_e64 v8, v15, 0, s[4:5]
	v_bfi_b32 v8, s24, v8, v9
	s_or_b64 s[0:1], s[4:5], s[0:1]
	v_cndmask_b32_e64 v6, v6, v8, s[0:1]
	v_fma_f32 v6, v6, s37, 1.0
	v_cmp_o_f32_e64 s[0:1], v35, v35
	s_cmpk_lg_i32 s15, 0x74
	s_nop 0
	v_cndmask_b32_e64 v6, v13, v6, s[0:1]
	v_fmac_f32_e32 v16, v34, v6
	s_cbranch_scc0 .LBB1_21
.LBB1_17:                               ; =>This Inner Loop Header: Depth=1
	s_add_i32 s0, s15, 0x80
	scratch_load_dwordx2 v[8:9], off, s0
                                        ; implicit-def: $vgpr20
	s_waitcnt vmcnt(0)
	v_add_f32_e32 v6, -1.0, v9
	v_fma_f32 v6, v6, s14, 1.0
	v_mul_f32_e32 v9, 0x40490e56, v6
	v_and_b32_e32 v19, 0x7fffffff, v9
	v_cmp_nlt_f32_e64 s[0:1], |v9|, s25
                                        ; implicit-def: $vgpr6
	s_and_saveexec_b64 s[2:3], s[0:1]
	s_xor_b64 s[8:9], exec, s[2:3]
	s_cbranch_execz .LBB1_19
; %bb.18:                               ;   in Loop: Header=BB1_17 Depth=1
	v_lshrrev_b32_e32 v6, 23, v19
	v_add_u32_e32 v6, 0xffffff88, v6
	v_cmp_lt_u32_e64 s[0:1], 63, v6
	s_nop 1
	v_cndmask_b32_e64 v20, 0, v17, s[0:1]
	v_add_u32_e32 v6, v20, v6
	v_cmp_lt_u32_e64 s[2:3], 31, v6
	s_nop 1
	v_cndmask_b32_e64 v20, 0, v18, s[2:3]
	v_add_u32_e32 v6, v20, v6
	v_cmp_lt_u32_e64 s[4:5], 31, v6
	s_nop 1
	v_cndmask_b32_e64 v20, 0, v18, s[4:5]
	v_add_u32_e32 v34, v20, v6
	v_and_b32_e32 v6, 0x7fffff, v19
	v_or_b32_e32 v32, 0x800000, v6
	v_mad_u64_u32 v[20:21], s[6:7], v32, s26, 0
	v_mov_b32_e32 v6, v21
	v_mad_u64_u32 v[22:23], s[6:7], v32, s27, v[6:7]
	v_mov_b32_e32 v6, v23
	;; [unrolled: 2-line block ×6, first 2 shown]
	v_mad_u64_u32 v[32:33], s[6:7], v32, s33, v[6:7]
	v_cndmask_b32_e64 v21, v30, v26, s[0:1]
	v_cndmask_b32_e64 v6, v32, v28, s[0:1]
	;; [unrolled: 1-line block ×10, first 2 shown]
	v_sub_u32_e32 v27, 32, v34
	v_cndmask_b32_e64 v25, v25, v22, s[2:3]
	v_alignbit_b32 v28, v6, v23, v27
	v_cmp_eq_u32_e64 s[6:7], 0, v34
	v_cndmask_b32_e64 v21, v21, v25, s[4:5]
	v_cndmask_b32_e64 v20, v24, v20, s[0:1]
	;; [unrolled: 1-line block ×3, first 2 shown]
	v_alignbit_b32 v26, v23, v21, v27
	v_cndmask_b32_e64 v20, v22, v20, s[2:3]
	v_cndmask_b32_e64 v23, v26, v23, s[6:7]
	v_bfe_u32 v29, v6, 29, 1
	v_cndmask_b32_e64 v20, v25, v20, s[4:5]
	v_alignbit_b32 v26, v6, v23, 30
	v_sub_u32_e32 v30, 0, v29
	v_alignbit_b32 v22, v21, v20, v27
	v_xor_b32_e32 v31, v26, v30
	v_cndmask_b32_e64 v21, v22, v21, s[6:7]
	v_alignbit_b32 v22, v23, v21, 30
	v_ffbh_u32_e32 v23, v31
	v_add_u32_e32 v23, 1, v23
	v_cmp_ne_u32_e64 s[0:1], v26, v30
	v_alignbit_b32 v20, v21, v20, 30
	v_xor_b32_e32 v22, v22, v30
	v_cndmask_b32_e64 v23, 33, v23, s[0:1]
	v_sub_u32_e32 v24, 32, v23
	v_xor_b32_e32 v20, v20, v30
	v_alignbit_b32 v25, v31, v22, v24
	v_alignbit_b32 v20, v22, v20, v24
	;; [unrolled: 1-line block ×3, first 2 shown]
	v_ffbh_u32_e32 v22, v21
	v_min_u32_e32 v22, 32, v22
	v_lshrrev_b32_e32 v28, 29, v6
	v_sub_u32_e32 v24, 31, v22
	v_alignbit_b32 v20, v21, v20, v24
	v_lshlrev_b32_e32 v21, 31, v28
	v_or_b32_e32 v24, 0x33800000, v21
	v_add_lshl_u32 v22, v22, v23, 23
	v_lshrrev_b32_e32 v20, 9, v20
	v_sub_u32_e32 v22, v24, v22
	v_or_b32_e32 v20, v22, v20
	v_alignbit_b32 v22, v23, v25, 9
	v_or_b32_e32 v21, v22, v21
	v_xor_b32_e32 v21, 1.0, v21
	v_mul_f32_e32 v22, 0x3fc90fda, v21
	v_fma_f32 v23, v21, s34, -v22
	v_fmac_f32_e32 v23, 0x33a22168, v21
	v_fmac_f32_e32 v23, 0x3fc90fda, v20
	v_lshrrev_b32_e32 v6, 30, v6
	v_add_f32_e32 v20, v22, v23
	v_add_u32_e32 v6, v29, v6
.LBB1_19:                               ;   in Loop: Header=BB1_17 Depth=1
	s_andn2_saveexec_b64 s[0:1], s[8:9]
	s_cbranch_execz .LBB1_16
; %bb.20:                               ;   in Loop: Header=BB1_17 Depth=1
	v_mul_f32_e64 v6, |v9|, s35
	v_rndne_f32_e32 v21, v6
	v_cvt_i32_f32_e32 v6, v21
	v_fma_f32 v20, v21, s36, |v9|
	v_fmac_f32_e32 v20, 0xb3a22168, v21
	v_fmac_f32_e32 v20, 0xa7c234c4, v21
	s_branch .LBB1_16
.LBB1_21:
	v_cmp_lt_f32_e64 s[0:1], v3, v16
	s_and_b64 exec, exec, s[0:1]
	s_cbranch_execz .LBB1_153
; %bb.22:
	scratch_load_dwordx4 v[6:9], off, off
	scratch_load_dwordx4 v[12:15], off, off offset:16
	scratch_load_dwordx4 v[16:19], off, off offset:32
	;; [unrolled: 1-line block ×6, first 2 shown]
	scratch_load_dwordx2 v[36:37], off, off offset:112
	s_waitcnt vmcnt(7)
	global_store_dwordx4 v[0:1], v[6:9], off
	s_waitcnt vmcnt(7)
	global_store_dwordx4 v[0:1], v[12:15], off offset:16
	s_waitcnt vmcnt(7)
	global_store_dwordx4 v[0:1], v[16:19], off offset:32
	;; [unrolled: 2-line block ×6, first 2 shown]
	s_waitcnt vmcnt(7)
	global_store_dwordx2 v[0:1], v[36:37], off offset:112
                                        ; implicit-def: $vgpr0
                                        ; implicit-def: $vgpr1
	s_and_saveexec_b64 s[0:1], s[12:13]
	s_xor_b64 s[8:9], exec, s[0:1]
	s_cbranch_execz .LBB1_24
; %bb.23:
	v_lshrrev_b32_e32 v0, 23, v10
	v_add_u32_e32 v0, 0xffffff88, v0
	v_not_b32_e32 v3, 63
	v_cmp_lt_u32_e64 s[0:1], 63, v0
	s_mov_b32 s6, 0xfe5163ab
	v_mov_b32_e32 v1, 0
	v_cndmask_b32_e64 v3, 0, v3, s[0:1]
	v_add_u32_e32 v0, v3, v0
	v_not_b32_e32 v3, 31
	v_cmp_lt_u32_e64 s[2:3], 31, v0
	s_nop 1
	v_cndmask_b32_e64 v4, 0, v3, s[2:3]
	v_add_u32_e32 v0, v4, v0
	v_cmp_lt_u32_e64 s[4:5], 31, v0
	s_nop 1
	v_cndmask_b32_e64 v3, 0, v3, s[4:5]
	v_add_u32_e32 v3, v3, v0
	v_and_b32_e32 v0, 0x7fffff, v10
	v_or_b32_e32 v4, 0x800000, v0
	v_mad_u64_u32 v[6:7], s[6:7], v4, s6, 0
	v_mov_b32_e32 v0, v7
	s_mov_b32 s6, 0x3c439041
	v_mad_u64_u32 v[8:9], s[6:7], v4, s6, v[0:1]
	v_mov_b32_e32 v0, v9
	s_mov_b32 s6, 0xdb629599
	;; [unrolled: 3-line block ×6, first 2 shown]
	v_mad_u64_u32 v[0:1], s[6:7], v4, s6, v[0:1]
	v_cndmask_b32_e64 v7, v18, v14, s[0:1]
	v_cndmask_b32_e64 v0, v0, v16, s[0:1]
	;; [unrolled: 1-line block ×7, first 2 shown]
	v_sub_u32_e32 v9, 32, v3
	v_cmp_eq_u32_e64 s[6:7], 0, v3
	v_cndmask_b32_e64 v3, v14, v8, s[0:1]
	v_cndmask_b32_e64 v0, v0, v4, s[4:5]
	;; [unrolled: 1-line block ×4, first 2 shown]
	v_alignbit_b32 v11, v0, v4, v9
	v_cndmask_b32_e64 v7, v7, v1, s[4:5]
	v_cndmask_b32_e64 v0, v11, v0, s[6:7]
	v_alignbit_b32 v8, v4, v7, v9
	v_cndmask_b32_e64 v4, v8, v4, s[6:7]
	v_bfe_u32 v13, v0, 29, 1
	v_cndmask_b32_e64 v6, v12, v6, s[0:1]
	v_alignbit_b32 v8, v0, v4, 30
	v_sub_u32_e32 v14, 0, v13
	v_cndmask_b32_e64 v3, v3, v6, s[2:3]
	v_xor_b32_e32 v15, v8, v14
	v_cndmask_b32_e64 v1, v1, v3, s[4:5]
	v_alignbit_b32 v3, v7, v1, v9
	v_ffbh_u32_e32 v6, v15
	v_cndmask_b32_e64 v3, v3, v7, s[6:7]
	v_add_u32_e32 v6, 1, v6
	v_cmp_ne_u32_e64 s[0:1], v8, v14
	v_alignbit_b32 v4, v4, v3, 30
	v_alignbit_b32 v1, v3, v1, 30
	v_cndmask_b32_e64 v6, 33, v6, s[0:1]
	v_xor_b32_e32 v4, v4, v14
	v_sub_u32_e32 v7, 32, v6
	v_xor_b32_e32 v1, v1, v14
	v_alignbit_b32 v8, v15, v4, v7
	v_alignbit_b32 v1, v4, v1, v7
	;; [unrolled: 1-line block ×3, first 2 shown]
	v_ffbh_u32_e32 v4, v3
	v_min_u32_e32 v4, 32, v4
	v_lshrrev_b32_e32 v11, 29, v0
	v_sub_u32_e32 v7, 31, v4
	v_alignbit_b32 v1, v3, v1, v7
	v_lshlrev_b32_e32 v3, 31, v11
	v_or_b32_e32 v7, 0x33800000, v3
	v_add_lshl_u32 v4, v4, v6, 23
	v_lshrrev_b32_e32 v1, 9, v1
	v_sub_u32_e32 v4, v7, v4
	v_or_b32_e32 v1, v4, v1
	v_alignbit_b32 v4, v6, v8, 9
	v_or_b32_e32 v3, v4, v3
	v_xor_b32_e32 v3, 1.0, v3
	s_mov_b32 s0, 0x3fc90fda
	v_mul_f32_e32 v4, 0x3fc90fda, v3
	v_fma_f32 v6, v3, s0, -v4
	v_fmamk_f32 v3, v3, 0x33a22168, v6
	v_fmac_f32_e32 v3, 0x3fc90fda, v1
	v_lshrrev_b32_e32 v0, 30, v0
	v_add_f32_e32 v1, v4, v3
	v_add_u32_e32 v0, v13, v0
.LBB1_24:
	s_andn2_saveexec_b64 s[0:1], s[8:9]
; %bb.25:
	s_mov_b32 s2, 0x3f22f983
	v_mul_f32_e64 v0, |v5|, s2
	v_rndne_f32_e32 v1, v0
	s_mov_b32 s2, 0xbfc90fda
	v_cvt_i32_f32_e32 v0, v1
	v_fma_f32 v3, v1, s2, |v5|
	v_fmamk_f32 v3, v1, 0xb3a22168, v3
	v_fmamk_f32 v1, v1, 0xa7c234c4, v3
; %bb.26:
	s_or_b64 exec, exec, s[0:1]
	v_mul_f32_e32 v3, v1, v1
	v_mov_b32_e32 v4, 0x3c0881c4
	v_fmamk_f32 v6, v3, 0xb94c1982, v4
	v_fmaak_f32 v6, v3, v6, 0xbe2aaa9d
	v_mul_f32_e32 v6, v3, v6
                                        ; implicit-def: $vgpr7
	v_fmac_f32_e32 v1, v1, v6
	v_mov_b32_e32 v6, 0xbab64f3b
	v_fmamk_f32 v7, v3, 0x37d75334, v6
	v_fmaak_f32 v7, v3, v7, 0x3d2aabf7
	v_fmaak_f32 v7, v3, v7, 0xbf000004
	v_fma_f32 v3, v3, v7, 1.0
	v_and_b32_e32 v7, 1, v0
	v_lshlrev_b32_e32 v0, 30, v0
	v_cmp_eq_u32_e64 s[0:1], 0, v7
	v_and_b32_e32 v0, 0x80000000, v0
	v_xor_b32_e32 v0, v10, v0
	v_cndmask_b32_e64 v1, v3, v1, s[0:1]
	v_xor_b32_e32 v0, v0, v1
	v_xor_b32_e32 v0, v0, v5
	v_mov_b32_e32 v5, 0x7fc00000
	v_cndmask_b32_e64 v24, v5, |v0|, vcc
	v_cndmask_b32_e32 v22, v5, v0, vcc
	v_frexp_mant_f32_e32 v0, v24
	s_mov_b32 s9, 0x3f2aaaab
	v_cmp_gt_f32_e32 vcc, s9, v0
                                        ; implicit-def: $vgpr8
                                        ; implicit-def: $vgpr8
	s_mov_b32 s12, 0x3f317218
	v_cmp_eq_f32_e64 s[0:1], 1.0, v22
	v_cndmask_b32_e64 v1, 1.0, 2.0, vcc
	v_mul_f32_e32 v0, v0, v1
	v_add_f32_e32 v3, 1.0, v0
	v_rcp_f32_e32 v7, v3
	v_add_f32_e32 v1, -1.0, v3
	v_sub_f32_e32 v9, v0, v1
	v_add_f32_e32 v1, -1.0, v0
	v_mul_f32_e32 v14, v1, v7
	v_mul_f32_e32 v8, v3, v14
	v_fma_f32 v10, v14, v3, -v8
	v_fmac_f32_e32 v10, v14, v9
	v_add_f32_e32 v0, v8, v10
	v_sub_f32_e32 v9, v1, v0
	v_pk_add_f32 v[12:13], v[0:1], v[8:9] neg_lo:[0,1] neg_hi:[0,1]
	v_mov_b32_e32 v11, v0
	v_pk_add_f32 v[0:1], v[12:13], v[10:11] neg_lo:[0,1] neg_hi:[0,1]
                                        ; implicit-def: $vgpr11
	v_cndmask_b32_e64 v23, 2.0, 1.0, s[0:1]
	v_add_f32_e32 v0, v0, v1
	v_add_f32_e32 v0, v9, v0
	v_mul_f32_e32 v1, v7, v0
	v_add_f32_e32 v0, v14, v1
	v_sub_f32_e32 v3, v0, v14
	v_sub_f32_e32 v3, v1, v3
	v_mul_f32_e32 v1, v0, v0
	v_fma_f32 v9, v0, v0, -v1
	v_add_f32_e32 v7, v3, v3
	v_fmac_f32_e32 v9, v0, v7
	v_add_f32_e32 v8, v1, v9
	v_mov_b32_e32 v7, 0x3e91f4c4
	v_fmamk_f32 v10, v8, 0x3e76c4e1, v7
	v_fmaak_f32 v10, v8, v10, 0x3ecccdef
	v_sub_f32_e32 v1, v8, v1
	v_sub_f32_e32 v16, v9, v1
	v_mul_f32_e32 v1, v8, v10
	v_fma_f32 v9, v8, v10, -v1
	v_fmac_f32_e32 v9, v16, v10
	v_add_f32_e32 v10, v1, v9
	v_add_f32_e32 v11, 0x3f2aaaaa, v10
	v_sub_f32_e32 v1, v10, v1
	v_sub_f32_e32 v1, v9, v1
	v_add_f32_e32 v9, 0xbf2aaaaa, v11
	v_add_f32_e32 v1, 0x31739010, v1
	v_sub_f32_e32 v9, v10, v9
	v_pk_mul_f32 v[12:13], v[0:1], v[8:9]
	v_pk_add_f32 v[14:15], v[0:1], v[8:9]
	v_fma_f32 v10, v8, v0, -v12
	v_fmac_f32_e32 v10, v8, v3
	v_mov_b32_e32 v13, v15
	v_fmac_f32_e32 v10, v16, v0
	v_pk_add_f32 v[8:9], v[12:13], v[10:11]
	v_ldexp_f32 v3, v3, 1
	v_sub_f32_e32 v1, v8, v12
	v_sub_f32_e32 v1, v10, v1
	;; [unrolled: 1-line block ×3, first 2 shown]
	v_add_f32_e32 v13, v15, v10
	v_mov_b32_e32 v10, v9
	v_pk_mul_f32 v[10:11], v[8:9], v[10:11]
	v_cvt_f64_f32_e32 v[14:15], v24
	v_frexp_exp_i32_f64_e32 v11, v[14:15]
	v_subbrev_co_u32_e32 v11, vcc, 0, v11, vcc
	v_cvt_f32_i32_e32 v11, v11
	v_fma_f32 v12, v8, v9, -v10
	v_fmac_f32_e32 v12, v8, v13
	v_fmac_f32_e32 v12, v1, v9
	v_mul_f32_e32 v8, 0x3f317218, v11
	v_fma_f32 v14, v11, s12, -v8
	v_fmac_f32_e32 v14, 0xb102e308, v11
	v_ldexp_f32 v15, v0, 1
	v_add_f32_e32 v9, v10, v12
	v_pk_add_f32 v[0:1], v[8:9], v[14:15]
	v_mov_b32_e32 v16, v9
	v_mov_b32_e32 v17, v1
	;; [unrolled: 1-line block ×3, first 2 shown]
	v_pk_add_f32 v[10:11], v[16:17], v[10:11] neg_lo:[0,1] neg_hi:[0,1]
	v_mov_b32_e32 v13, v9
	v_pk_add_f32 v[10:11], v[12:13], v[10:11] neg_lo:[0,1] neg_hi:[0,1]
	v_mov_b32_e32 v15, v0
	v_add_f32_e32 v3, v3, v10
	v_add_f32_e32 v9, v3, v11
	v_pk_add_f32 v[10:11], v[0:1], v[8:9] neg_lo:[0,1] neg_hi:[0,1]
	v_pk_add_f32 v[12:13], v[0:1], v[8:9]
	v_mov_b32_e32 v16, v10
	v_mov_b32_e32 v17, v13
	v_pk_add_f32 v[16:17], v[14:15], v[16:17]
	v_pk_add_f32 v[10:11], v[14:15], v[10:11] neg_lo:[0,1] neg_hi:[0,1]
	v_mov_b32_e32 v8, v17
	v_pk_add_f32 v[18:19], v[8:9], v[0:1] neg_lo:[0,1] neg_hi:[0,1]
	v_mov_b32_e32 v16, v13
	v_mov_b32_e32 v3, v18
	;; [unrolled: 1-line block ×4, first 2 shown]
	v_pk_add_f32 v[20:21], v[12:13], v[2:3] neg_lo:[0,1] neg_hi:[0,1]
	v_pk_add_f32 v[0:1], v[16:17], v[0:1] neg_lo:[0,1] neg_hi:[0,1]
	v_mov_b32_e32 v14, v9
	v_pk_add_f32 v[0:1], v[14:15], v[0:1] neg_lo:[0,1] neg_hi:[0,1]
	v_mov_b32_e32 v20, v10
	v_pk_add_f32 v[12:13], v[20:21], v[0:1]
	v_mov_b32_e32 v11, v17
	v_mov_b32_e32 v14, v13
	v_pk_add_f32 v[14:15], v[12:13], v[14:15]
	s_movk_i32 s13, 0x204
	v_pk_add_f32 v[8:9], v[8:9], v[14:15]
	v_mov_b32_e32 v1, v14
	v_mov_b32_e32 v13, v8
	v_pk_add_f32 v[16:17], v[12:13], v[10:11] neg_lo:[0,1] neg_hi:[0,1]
	s_mov_b32 s15, 0x42b17218
	v_sub_f32_e32 v3, v12, v16
	v_pk_add_f32 v[0:1], v[0:1], v[16:17] neg_lo:[0,1] neg_hi:[0,1]
	v_sub_f32_e32 v3, v10, v3
	v_add_f32_e32 v0, v0, v3
	v_add_f32_e32 v0, v0, v1
	;; [unrolled: 1-line block ×3, first 2 shown]
	v_sub_f32_e32 v3, v1, v8
	v_sub_f32_e32 v0, v0, v3
	v_mul_f32_e32 v3, v23, v1
	v_fma_f32 v1, v23, v1, -v3
	v_fmac_f32_e32 v1, v23, v0
	v_add_f32_e32 v0, v3, v1
	v_cmp_class_f32_e64 vcc, v3, s13
	v_sub_f32_e32 v8, v0, v3
	v_sub_f32_e32 v1, v1, v8
	v_cndmask_b32_e32 v0, v0, v3, vcc
	v_mov_b32_e32 v8, 0x37000000
	v_cmp_eq_f32_e32 vcc, s15, v0
	s_mov_b32 s16, 0x3fb8aa3b
	s_mov_b32 s14, 0x7f800000
	v_cndmask_b32_e32 v3, 0, v8, vcc
	v_sub_f32_e32 v10, v0, v3
	v_mul_f32_e32 v9, 0x3fb8aa3b, v10
	v_fma_f32 v11, v10, s16, -v9
	v_rndne_f32_e32 v12, v9
	v_fmac_f32_e32 v11, 0x32a5705f, v10
	v_sub_f32_e32 v9, v9, v12
	v_add_f32_e32 v9, v9, v11
	v_exp_f32_e32 v9, v9
	v_cvt_i32_f32_e32 v11, v12
	v_cmp_neq_f32_e64 vcc, |v0|, s14
	s_mov_b32 s17, 0xc2ce8ed0
	s_brev_b32 s18, -2
	v_cndmask_b32_e32 v0, 0, v1, vcc
	v_ldexp_f32 v1, v9, v11
	v_cmp_ngt_f32_e32 vcc, s17, v10
	v_mov_b32_e32 v9, 0x7f800000
	v_add_f32_e32 v0, v3, v0
	v_cndmask_b32_e32 v1, 0, v1, vcc
	v_cmp_nlt_f32_e32 vcc, s15, v10
	v_cmp_eq_f32_e64 s[2:3], 0, v22
	s_mov_b32 s8, 0
	v_cndmask_b32_e32 v1, v9, v1, vcc
	v_fma_f32 v0, v1, v0, v1
	v_cmp_class_f32_e64 vcc, v1, s13
	s_mov_b32 s19, 0x3e800000
	s_brev_b32 s20, 18
	v_cndmask_b32_e32 v0, v0, v1, vcc
	v_trunc_f32_e32 v1, v23
	v_cmp_eq_f32_e32 vcc, v1, v23
	v_mul_f32_e32 v1, 0.5, v23
	v_trunc_f32_e32 v3, v1
	v_cmp_neq_f32_e64 s[0:1], v3, v1
	s_and_b64 s[0:1], vcc, s[0:1]
	s_mov_b32 s21, 0xfe5163ab
	v_cndmask_b32_e64 v1, 1.0, v22, s[0:1]
	v_bfi_b32 v0, s18, v0, v1
	v_cndmask_b32_e32 v1, v5, v0, vcc
	v_cmp_gt_f32_e32 vcc, 0, v22
	v_cndmask_b32_e64 v3, 0, v22, s[0:1]
	s_mov_b32 s22, 0x3c439041
	v_cndmask_b32_e32 v0, v0, v1, vcc
	v_cmp_eq_f32_e32 vcc, s14, v24
	v_cndmask_b32_e64 v1, v9, 0, s[2:3]
	v_bfi_b32 v1, s18, v1, v3
	s_or_b64 vcc, s[2:3], vcc
	v_cndmask_b32_e32 v0, v0, v1, vcc
	v_cmp_o_f32_e32 vcc, v22, v22
	s_mov_b32 s23, 0xdb629599
	s_mov_b32 s24, 0xf534ddc0
	v_cndmask_b32_e32 v0, v5, v0, vcc
	v_add_f32_e32 v10, v2, v0
	s_mov_b32 s25, 0xfc2757d1
	s_mov_b32 s26, 0x4e441529
	;; [unrolled: 1-line block ×6, first 2 shown]
	s_movk_i32 s31, 0x1f8
	s_mov_b32 s33, 0x41200000
	v_mov_b32_e32 v1, 0
	v_not_b32_e32 v11, 63
	v_not_b32_e32 v12, 31
	s_branch .LBB1_28
.LBB1_27:                               ;   in Loop: Header=BB1_28 Depth=1
	s_or_b64 exec, exec, s[0:1]
	v_add_f32_e32 v2, -1.0, v2
	v_fma_f32 v2, v2, s19, 1.0
	v_add_f32_e32 v32, -1.0, v2
	v_cmp_eq_f32_e32 vcc, 1.0, v32
	v_frexp_mant_f32_e64 v2, |v32|
	v_cmp_class_f32_e64 s[2:3], v32, s13
	v_cndmask_b32_e64 v33, 2.0, 1.0, vcc
	v_cmp_gt_f32_e32 vcc, s9, v2
	v_xor_b32_e32 v13, v13, v3
	s_add_i32 s8, s8, 4
	v_cndmask_b32_e64 v15, 1.0, 2.0, vcc
	v_mul_f32_e32 v2, v2, v15
	v_add_f32_e32 v15, 1.0, v2
	v_rcp_f32_e32 v24, v15
	v_add_f32_e32 v16, -1.0, v15
	v_add_f32_e32 v17, -1.0, v2
	v_sub_f32_e32 v16, v2, v16
	v_mul_f32_e32 v2, v17, v24
	v_mul_f32_e32 v18, v15, v2
	v_fma_f32 v20, v2, v15, -v18
	v_fmac_f32_e32 v20, v2, v16
	v_add_f32_e32 v16, v18, v20
	v_sub_f32_e32 v19, v17, v16
	v_pk_add_f32 v[22:23], v[16:17], v[18:19] neg_lo:[0,1] neg_hi:[0,1]
	v_mov_b32_e32 v21, v16
	v_pk_add_f32 v[16:17], v[22:23], v[20:21] neg_lo:[0,1] neg_hi:[0,1]
	s_nop 0
	v_add_f32_e32 v15, v16, v17
	v_add_f32_e32 v15, v19, v15
	v_mul_f32_e32 v15, v24, v15
	v_add_f32_e32 v16, v2, v15
	v_sub_f32_e32 v2, v16, v2
	v_sub_f32_e32 v15, v15, v2
	v_mul_f32_e32 v2, v16, v16
	v_fma_f32 v17, v16, v16, -v2
	v_add_f32_e32 v18, v15, v15
	v_fmac_f32_e32 v17, v16, v18
	v_add_f32_e32 v18, v2, v17
	v_fmamk_f32 v19, v18, 0x3e76c4e1, v7
	v_fmaak_f32 v19, v18, v19, 0x3ecccdef
	v_sub_f32_e32 v2, v18, v2
	v_sub_f32_e32 v2, v17, v2
	v_mul_f32_e32 v17, v18, v19
	v_fma_f32 v20, v18, v19, -v17
	v_fmac_f32_e32 v20, v2, v19
	v_add_f32_e32 v19, v17, v20
	v_add_f32_e32 v21, 0x3f2aaaaa, v19
	v_sub_f32_e32 v17, v19, v17
	v_sub_f32_e32 v17, v20, v17
	v_add_f32_e32 v20, 0xbf2aaaaa, v21
	v_add_f32_e32 v17, 0x31739010, v17
	v_sub_f32_e32 v19, v19, v20
	v_pk_mul_f32 v[22:23], v[16:17], v[18:19]
	v_pk_add_f32 v[24:25], v[16:17], v[18:19]
	v_fma_f32 v20, v18, v16, -v22
	v_fmac_f32_e32 v20, v18, v15
	v_mov_b32_e32 v23, v25
	v_fmac_f32_e32 v20, v2, v16
	v_pk_add_f32 v[18:19], v[22:23], v[20:21]
	s_nop 0
	v_sub_f32_e32 v2, v18, v22
	v_sub_f32_e32 v17, v20, v2
	;; [unrolled: 1-line block ×3, first 2 shown]
	v_add_f32_e32 v24, v25, v2
	v_mov_b32_e32 v2, v19
	v_cvt_f64_f32_e64 v[22:23], |v32|
	v_pk_mul_f32 v[20:21], v[18:19], v[2:3]
	v_frexp_exp_i32_f64_e32 v2, v[22:23]
	v_subbrev_co_u32_e32 v2, vcc, 0, v2, vcc
	v_cvt_f32_i32_e32 v2, v2
	v_fma_f32 v22, v18, v19, -v20
	v_fmac_f32_e32 v22, v18, v24
	v_fmac_f32_e32 v22, v17, v19
	v_mul_f32_e32 v18, 0x3f317218, v2
	v_fma_f32 v24, v2, s12, -v18
	v_fmac_f32_e32 v24, 0xb102e308, v2
	v_ldexp_f32 v25, v16, 1
	v_add_f32_e32 v19, v20, v22
	v_pk_add_f32 v[16:17], v[18:19], v[24:25]
	v_mov_b32_e32 v26, v19
	v_mov_b32_e32 v27, v17
	v_mov_b32_e32 v21, v25
	v_pk_add_f32 v[20:21], v[26:27], v[20:21] neg_lo:[0,1] neg_hi:[0,1]
	v_mov_b32_e32 v23, v19
	v_ldexp_f32 v2, v15, 1
	v_pk_add_f32 v[20:21], v[22:23], v[20:21] neg_lo:[0,1] neg_hi:[0,1]
	v_mov_b32_e32 v25, v16
	v_add_f32_e32 v2, v2, v20
	v_add_f32_e32 v19, v2, v21
	v_pk_add_f32 v[20:21], v[16:17], v[18:19] neg_lo:[0,1] neg_hi:[0,1]
	v_pk_add_f32 v[22:23], v[16:17], v[18:19]
	v_mov_b32_e32 v26, v20
	v_mov_b32_e32 v27, v23
	v_pk_add_f32 v[26:27], v[24:25], v[26:27]
	v_pk_add_f32 v[20:21], v[24:25], v[20:21] neg_lo:[0,1] neg_hi:[0,1]
	v_mov_b32_e32 v2, v27
	v_pk_add_f32 v[28:29], v[2:3], v[16:17] neg_lo:[0,1] neg_hi:[0,1]
	v_mov_b32_e32 v26, v23
	v_mov_b32_e32 v15, v28
	;; [unrolled: 1-line block ×4, first 2 shown]
	v_pk_add_f32 v[30:31], v[22:23], v[14:15] neg_lo:[0,1] neg_hi:[0,1]
	v_pk_add_f32 v[16:17], v[26:27], v[16:17] neg_lo:[0,1] neg_hi:[0,1]
	v_mov_b32_e32 v24, v19
	v_pk_add_f32 v[16:17], v[24:25], v[16:17] neg_lo:[0,1] neg_hi:[0,1]
	v_mov_b32_e32 v30, v20
	v_pk_add_f32 v[18:19], v[30:31], v[16:17]
	v_mov_b32_e32 v21, v27
	v_mov_b32_e32 v22, v19
	v_pk_add_f32 v[22:23], v[18:19], v[22:23]
	s_nop 0
	v_pk_add_f32 v[24:25], v[2:3], v[22:23]
	v_mov_b32_e32 v17, v22
	v_mov_b32_e32 v19, v24
	v_pk_add_f32 v[26:27], v[18:19], v[20:21] neg_lo:[0,1] neg_hi:[0,1]
	s_nop 0
	v_sub_f32_e32 v2, v18, v26
	v_pk_add_f32 v[16:17], v[16:17], v[26:27] neg_lo:[0,1] neg_hi:[0,1]
	v_sub_f32_e32 v2, v20, v2
	v_add_f32_e32 v2, v16, v2
	v_add_f32_e32 v2, v2, v17
	;; [unrolled: 1-line block ×3, first 2 shown]
	v_sub_f32_e32 v16, v15, v24
	v_sub_f32_e32 v2, v2, v16
	v_mul_f32_e32 v16, v33, v15
	v_fma_f32 v15, v33, v15, -v16
	v_fmac_f32_e32 v15, v33, v2
	v_add_f32_e32 v2, v16, v15
	v_cmp_class_f32_e64 vcc, v16, s13
	v_sub_f32_e32 v17, v2, v16
	v_sub_f32_e32 v15, v15, v17
	v_cndmask_b32_e32 v2, v2, v16, vcc
	v_cmp_eq_f32_e32 vcc, s15, v2
	s_nop 1
	v_cndmask_b32_e32 v16, 0, v8, vcc
	v_sub_f32_e32 v17, v2, v16
	v_mul_f32_e32 v18, 0x3fb8aa3b, v17
	v_fma_f32 v19, v17, s16, -v18
	v_rndne_f32_e32 v20, v18
	v_fmac_f32_e32 v19, 0x32a5705f, v17
	v_sub_f32_e32 v18, v18, v20
	v_add_f32_e32 v18, v18, v19
	v_exp_f32_e32 v18, v18
	v_cvt_i32_f32_e32 v19, v20
	v_cmp_neq_f32_e64 vcc, |v2|, s14
	s_nop 1
	v_cndmask_b32_e32 v2, 0, v15, vcc
	v_ldexp_f32 v15, v18, v19
	v_cmp_ngt_f32_e32 vcc, s17, v17
	v_add_f32_e32 v2, v16, v2
	s_nop 0
	v_cndmask_b32_e32 v15, 0, v15, vcc
	v_cmp_nlt_f32_e32 vcc, s15, v17
	s_nop 1
	v_cndmask_b32_e32 v15, v9, v15, vcc
	v_fma_f32 v2, v15, v2, v15
	v_cmp_class_f32_e64 vcc, v15, s13
	s_nop 1
	v_cndmask_b32_e32 v2, v2, v15, vcc
	v_trunc_f32_e32 v15, v33
	v_cmp_eq_f32_e32 vcc, v15, v33
	v_mul_f32_e32 v15, 0.5, v33
	v_trunc_f32_e32 v16, v15
	v_cmp_neq_f32_e64 s[0:1], v16, v15
	s_and_b64 s[0:1], vcc, s[0:1]
	s_nop 0
	v_cndmask_b32_e64 v15, 1.0, v32, s[0:1]
	v_bfi_b32 v2, s18, v2, v15
	v_cndmask_b32_e32 v15, v5, v2, vcc
	v_cmp_gt_f32_e32 vcc, 0, v32
	v_cndmask_b32_e64 v16, 0, v32, s[0:1]
	s_nop 0
	v_cndmask_b32_e32 v2, v2, v15, vcc
	v_cmp_eq_f32_e32 vcc, 0, v32
	s_nop 1
	v_cndmask_b32_e64 v15, v9, 0, vcc
	v_bfi_b32 v15, s18, v15, v16
	s_or_b64 vcc, vcc, s[2:3]
	v_cndmask_b32_e32 v2, v2, v15, vcc
	v_cmp_o_f32_e32 vcc, v32, v32
	s_nop 1
	v_cndmask_b32_e32 v28, v5, v2, vcc
	v_mul_f32_e32 v2, v14, v14
	v_fmamk_f32 v15, v2, 0xb94c1982, v4
	v_fmaak_f32 v15, v2, v15, 0xbe2aaa9d
	v_mul_f32_e32 v15, v2, v15
	v_fmac_f32_e32 v14, v14, v15
	v_fmamk_f32 v15, v2, 0x37d75334, v6
	v_fmaak_f32 v15, v2, v15, 0x3d2aabf7
	v_fmaak_f32 v15, v2, v15, 0xbf000004
	v_fma_f32 v2, v2, v15, 1.0
	v_and_b32_e32 v15, 1, v0
	v_lshlrev_b32_e32 v0, 30, v0
	v_cmp_eq_u32_e32 vcc, 0, v15
	v_and_b32_e32 v0, 0x80000000, v0
	v_xor_b32_e32 v0, v13, v0
	v_cndmask_b32_e32 v2, v2, v14, vcc
	v_xor_b32_e32 v0, v0, v2
	v_cmp_class_f32_e64 vcc, v3, s31
	s_nop 1
	v_cndmask_b32_e64 v31, v5, |v0|, vcc
	v_cndmask_b32_e32 v29, v5, v0, vcc
	v_frexp_mant_f32_e32 v0, v31
	v_cmp_gt_f32_e32 vcc, s9, v0
	v_cmp_eq_f32_e64 s[0:1], 1.0, v29
	v_cmp_eq_f32_e64 s[2:3], 0, v29
	v_cndmask_b32_e64 v2, 1.0, 2.0, vcc
	v_mul_f32_e32 v0, v0, v2
	v_add_f32_e32 v2, 1.0, v0
	v_rcp_f32_e32 v13, v2
	v_add_f32_e32 v3, -1.0, v2
	v_sub_f32_e32 v15, v0, v3
	v_add_f32_e32 v3, -1.0, v0
	v_mul_f32_e32 v0, v3, v13
	v_mul_f32_e32 v14, v2, v0
	v_fma_f32 v16, v0, v2, -v14
	v_fmac_f32_e32 v16, v0, v15
	v_add_f32_e32 v2, v14, v16
	v_sub_f32_e32 v15, v3, v2
	v_pk_add_f32 v[18:19], v[2:3], v[14:15] neg_lo:[0,1] neg_hi:[0,1]
	v_mov_b32_e32 v17, v2
	v_pk_add_f32 v[2:3], v[18:19], v[16:17] neg_lo:[0,1] neg_hi:[0,1]
	v_cndmask_b32_e64 v30, 2.0, 1.0, s[0:1]
	v_add_f32_e32 v2, v2, v3
	v_add_f32_e32 v2, v15, v2
	v_mul_f32_e32 v3, v13, v2
	v_add_f32_e32 v2, v0, v3
	v_sub_f32_e32 v0, v2, v0
	v_sub_f32_e32 v13, v3, v0
	v_mul_f32_e32 v0, v2, v2
	v_fma_f32 v3, v2, v2, -v0
	v_add_f32_e32 v14, v13, v13
	v_fmac_f32_e32 v3, v2, v14
	v_add_f32_e32 v14, v0, v3
	v_fmamk_f32 v15, v14, 0x3e76c4e1, v7
	v_fmaak_f32 v15, v14, v15, 0x3ecccdef
	v_sub_f32_e32 v0, v14, v0
	v_sub_f32_e32 v0, v3, v0
	v_mul_f32_e32 v3, v14, v15
	v_fma_f32 v16, v14, v15, -v3
	v_fmac_f32_e32 v16, v0, v15
	v_add_f32_e32 v15, v3, v16
	v_add_f32_e32 v17, 0x3f2aaaaa, v15
	v_sub_f32_e32 v3, v15, v3
	v_sub_f32_e32 v3, v16, v3
	v_add_f32_e32 v16, 0xbf2aaaaa, v17
	v_add_f32_e32 v3, 0x31739010, v3
	v_sub_f32_e32 v15, v15, v16
	v_pk_mul_f32 v[18:19], v[2:3], v[14:15]
	v_pk_add_f32 v[20:21], v[2:3], v[14:15]
	v_fma_f32 v16, v14, v2, -v18
	v_fmac_f32_e32 v16, v14, v13
	v_mov_b32_e32 v19, v21
	v_fmac_f32_e32 v16, v0, v2
	v_pk_add_f32 v[14:15], v[18:19], v[16:17]
	s_nop 0
	v_sub_f32_e32 v0, v14, v18
	v_sub_f32_e32 v3, v16, v0
	;; [unrolled: 1-line block ×3, first 2 shown]
	v_add_f32_e32 v20, v21, v0
	v_mov_b32_e32 v0, v15
	v_cvt_f64_f32_e32 v[18:19], v31
	v_pk_mul_f32 v[16:17], v[14:15], v[0:1]
	v_frexp_exp_i32_f64_e32 v0, v[18:19]
	v_subbrev_co_u32_e32 v0, vcc, 0, v0, vcc
	v_cvt_f32_i32_e32 v0, v0
	v_fma_f32 v18, v14, v15, -v16
	v_fmac_f32_e32 v18, v14, v20
	v_fmac_f32_e32 v18, v3, v15
	v_mul_f32_e32 v14, 0x3f317218, v0
	v_fma_f32 v20, v0, s12, -v14
	v_fmac_f32_e32 v20, 0xb102e308, v0
	v_ldexp_f32 v21, v2, 1
	v_add_f32_e32 v15, v16, v18
	v_pk_add_f32 v[2:3], v[14:15], v[20:21]
	v_mov_b32_e32 v22, v15
	v_mov_b32_e32 v23, v3
	;; [unrolled: 1-line block ×3, first 2 shown]
	v_pk_add_f32 v[16:17], v[22:23], v[16:17] neg_lo:[0,1] neg_hi:[0,1]
	v_mov_b32_e32 v19, v15
	v_ldexp_f32 v0, v13, 1
	v_pk_add_f32 v[16:17], v[18:19], v[16:17] neg_lo:[0,1] neg_hi:[0,1]
	v_mov_b32_e32 v21, v2
	v_add_f32_e32 v0, v0, v16
	v_add_f32_e32 v15, v0, v17
	v_pk_add_f32 v[16:17], v[2:3], v[14:15] neg_lo:[0,1] neg_hi:[0,1]
	v_pk_add_f32 v[18:19], v[2:3], v[14:15]
	v_mov_b32_e32 v22, v16
	v_mov_b32_e32 v23, v19
	v_pk_add_f32 v[22:23], v[20:21], v[22:23]
	v_pk_add_f32 v[16:17], v[20:21], v[16:17] neg_lo:[0,1] neg_hi:[0,1]
	v_mov_b32_e32 v0, v23
	v_pk_add_f32 v[24:25], v[0:1], v[2:3] neg_lo:[0,1] neg_hi:[0,1]
	v_mov_b32_e32 v22, v19
	v_mov_b32_e32 v13, v24
	;; [unrolled: 1-line block ×4, first 2 shown]
	v_pk_add_f32 v[26:27], v[18:19], v[12:13] neg_lo:[0,1] neg_hi:[0,1]
	v_pk_add_f32 v[2:3], v[22:23], v[2:3] neg_lo:[0,1] neg_hi:[0,1]
	v_mov_b32_e32 v20, v15
	v_pk_add_f32 v[2:3], v[20:21], v[2:3] neg_lo:[0,1] neg_hi:[0,1]
	v_mov_b32_e32 v26, v16
	v_pk_add_f32 v[14:15], v[26:27], v[2:3]
	v_mov_b32_e32 v17, v23
	v_mov_b32_e32 v18, v15
	v_pk_add_f32 v[18:19], v[14:15], v[18:19]
	s_nop 0
	v_pk_add_f32 v[20:21], v[0:1], v[18:19]
	v_mov_b32_e32 v3, v18
	v_mov_b32_e32 v15, v20
	v_pk_add_f32 v[22:23], v[14:15], v[16:17] neg_lo:[0,1] neg_hi:[0,1]
	s_nop 0
	v_sub_f32_e32 v0, v14, v22
	v_pk_add_f32 v[2:3], v[2:3], v[22:23] neg_lo:[0,1] neg_hi:[0,1]
	v_sub_f32_e32 v0, v16, v0
	v_add_f32_e32 v0, v2, v0
	v_add_f32_e32 v0, v0, v3
	;; [unrolled: 1-line block ×3, first 2 shown]
	v_sub_f32_e32 v3, v2, v20
	v_sub_f32_e32 v0, v0, v3
	v_mul_f32_e32 v3, v30, v2
	v_fma_f32 v2, v30, v2, -v3
	v_fmac_f32_e32 v2, v30, v0
	v_add_f32_e32 v0, v3, v2
	v_cmp_class_f32_e64 vcc, v3, s13
	v_sub_f32_e32 v13, v0, v3
	v_sub_f32_e32 v2, v2, v13
	v_cndmask_b32_e32 v0, v0, v3, vcc
	v_cmp_eq_f32_e32 vcc, s15, v0
	s_nop 1
	v_cndmask_b32_e32 v3, 0, v8, vcc
	v_sub_f32_e32 v13, v0, v3
	v_mul_f32_e32 v14, 0x3fb8aa3b, v13
	v_fma_f32 v15, v13, s16, -v14
	v_rndne_f32_e32 v16, v14
	v_fmac_f32_e32 v15, 0x32a5705f, v13
	v_sub_f32_e32 v14, v14, v16
	v_add_f32_e32 v14, v14, v15
	v_exp_f32_e32 v14, v14
	v_cvt_i32_f32_e32 v15, v16
	v_cmp_neq_f32_e64 vcc, |v0|, s14
	s_nop 1
	v_cndmask_b32_e32 v0, 0, v2, vcc
	v_ldexp_f32 v2, v14, v15
	v_cmp_ngt_f32_e32 vcc, s17, v13
	v_add_f32_e32 v0, v3, v0
	s_nop 0
	v_cndmask_b32_e32 v2, 0, v2, vcc
	v_cmp_nlt_f32_e32 vcc, s15, v13
	s_nop 1
	v_cndmask_b32_e32 v2, v9, v2, vcc
	v_fma_f32 v0, v2, v0, v2
	v_cmp_class_f32_e64 vcc, v2, s13
	s_nop 1
	v_cndmask_b32_e32 v0, v0, v2, vcc
	v_trunc_f32_e32 v2, v30
	v_cmp_eq_f32_e32 vcc, v2, v30
	v_mul_f32_e32 v2, 0.5, v30
	v_trunc_f32_e32 v3, v2
	v_cmp_neq_f32_e64 s[0:1], v3, v2
	s_and_b64 s[0:1], vcc, s[0:1]
	s_nop 0
	v_cndmask_b32_e64 v2, 1.0, v29, s[0:1]
	v_bfi_b32 v0, s18, v0, v2
	v_cndmask_b32_e32 v2, v5, v0, vcc
	v_cmp_gt_f32_e32 vcc, 0, v29
	v_cndmask_b32_e64 v3, 0, v29, s[0:1]
	s_nop 0
	v_cndmask_b32_e32 v0, v0, v2, vcc
	v_cmp_eq_f32_e32 vcc, s14, v31
	v_cndmask_b32_e64 v2, v9, 0, s[2:3]
	v_bfi_b32 v2, s18, v2, v3
	s_or_b64 vcc, s[2:3], vcc
	v_cndmask_b32_e32 v0, v0, v2, vcc
	v_fma_f32 v0, v0, s33, 1.0
	v_cmp_o_f32_e32 vcc, v29, v29
	s_cmpk_lg_i32 s8, 0x74
	s_nop 0
	v_cndmask_b32_e32 v0, v5, v0, vcc
	v_fmac_f32_e32 v10, v28, v0
	s_cbranch_scc0 .LBB1_32
.LBB1_28:                               ; =>This Inner Loop Header: Depth=1
	s_add_i32 s0, s8, 0
	scratch_load_dwordx2 v[2:3], off, s0
                                        ; implicit-def: $vgpr14
	s_waitcnt vmcnt(0)
	v_add_f32_e32 v0, -1.0, v3
	v_fma_f32 v0, v0, s19, 1.0
	v_mul_f32_e32 v3, 0x40490e56, v0
	v_and_b32_e32 v13, 0x7fffffff, v3
	v_cmp_nlt_f32_e64 s[0:1], |v3|, s20
                                        ; implicit-def: $vgpr0
	s_and_saveexec_b64 s[2:3], s[0:1]
	s_xor_b64 s[6:7], exec, s[2:3]
	s_cbranch_execz .LBB1_30
; %bb.29:                               ;   in Loop: Header=BB1_28 Depth=1
	v_lshrrev_b32_e32 v0, 23, v13
	v_add_u32_e32 v0, 0xffffff88, v0
	v_cmp_lt_u32_e32 vcc, 63, v0
	s_nop 1
	v_cndmask_b32_e32 v14, 0, v11, vcc
	v_add_u32_e32 v0, v14, v0
	v_cmp_lt_u32_e64 s[0:1], 31, v0
	s_nop 1
	v_cndmask_b32_e64 v14, 0, v12, s[0:1]
	v_add_u32_e32 v0, v14, v0
	v_cmp_lt_u32_e64 s[2:3], 31, v0
	s_nop 1
	v_cndmask_b32_e64 v14, 0, v12, s[2:3]
	v_add_u32_e32 v28, v14, v0
	v_and_b32_e32 v0, 0x7fffff, v13
	v_or_b32_e32 v26, 0x800000, v0
	v_mad_u64_u32 v[14:15], s[4:5], v26, s21, 0
	v_mov_b32_e32 v0, v15
	v_mad_u64_u32 v[16:17], s[4:5], v26, s22, v[0:1]
	v_mov_b32_e32 v0, v17
	;; [unrolled: 2-line block ×6, first 2 shown]
	v_mad_u64_u32 v[26:27], s[4:5], v26, s27, v[0:1]
	v_cndmask_b32_e32 v15, v24, v20, vcc
	v_cndmask_b32_e32 v0, v26, v22, vcc
	v_cndmask_b32_e32 v19, v27, v24, vcc
	v_cndmask_b32_e64 v17, v0, v15, s[0:1]
	v_cndmask_b32_e64 v0, v19, v0, s[0:1]
	v_cndmask_b32_e32 v19, v22, v18, vcc
	v_cndmask_b32_e64 v15, v15, v19, s[0:1]
	v_cndmask_b32_e32 v16, v20, v16, vcc
	v_cndmask_b32_e64 v0, v0, v17, s[2:3]
	v_cndmask_b32_e64 v17, v17, v15, s[2:3]
	v_sub_u32_e32 v21, 32, v28
	v_cndmask_b32_e64 v19, v19, v16, s[0:1]
	v_alignbit_b32 v22, v0, v17, v21
	v_cmp_eq_u32_e64 s[4:5], 0, v28
	v_cndmask_b32_e64 v15, v15, v19, s[2:3]
	v_cndmask_b32_e32 v14, v18, v14, vcc
	v_cndmask_b32_e64 v0, v22, v0, s[4:5]
	v_alignbit_b32 v20, v17, v15, v21
	v_cndmask_b32_e64 v14, v16, v14, s[0:1]
	v_cndmask_b32_e64 v17, v20, v17, s[4:5]
	v_bfe_u32 v23, v0, 29, 1
	v_cndmask_b32_e64 v14, v19, v14, s[2:3]
	v_alignbit_b32 v20, v0, v17, 30
	v_sub_u32_e32 v24, 0, v23
	v_alignbit_b32 v16, v15, v14, v21
	v_xor_b32_e32 v25, v20, v24
	v_cndmask_b32_e64 v15, v16, v15, s[4:5]
	v_alignbit_b32 v16, v17, v15, 30
	v_ffbh_u32_e32 v17, v25
	v_add_u32_e32 v17, 1, v17
	v_cmp_ne_u32_e32 vcc, v20, v24
	v_alignbit_b32 v14, v15, v14, 30
	v_xor_b32_e32 v16, v16, v24
	v_cndmask_b32_e32 v17, 33, v17, vcc
	v_sub_u32_e32 v18, 32, v17
	v_xor_b32_e32 v14, v14, v24
	v_alignbit_b32 v19, v25, v16, v18
	v_alignbit_b32 v14, v16, v14, v18
	;; [unrolled: 1-line block ×3, first 2 shown]
	v_ffbh_u32_e32 v16, v15
	v_min_u32_e32 v16, 32, v16
	v_lshrrev_b32_e32 v22, 29, v0
	v_sub_u32_e32 v18, 31, v16
	v_alignbit_b32 v14, v15, v14, v18
	v_lshlrev_b32_e32 v15, 31, v22
	v_or_b32_e32 v18, 0x33800000, v15
	v_add_lshl_u32 v16, v16, v17, 23
	v_lshrrev_b32_e32 v14, 9, v14
	v_sub_u32_e32 v16, v18, v16
	v_or_b32_e32 v14, v16, v14
	v_alignbit_b32 v16, v17, v19, 9
	v_or_b32_e32 v15, v16, v15
	v_xor_b32_e32 v15, 1.0, v15
	v_mul_f32_e32 v16, 0x3fc90fda, v15
	v_fma_f32 v17, v15, s28, -v16
	v_fmac_f32_e32 v17, 0x33a22168, v15
	v_fmac_f32_e32 v17, 0x3fc90fda, v14
	v_lshrrev_b32_e32 v0, 30, v0
	v_add_f32_e32 v14, v16, v17
	v_add_u32_e32 v0, v23, v0
.LBB1_30:                               ;   in Loop: Header=BB1_28 Depth=1
	s_andn2_saveexec_b64 s[0:1], s[6:7]
	s_cbranch_execz .LBB1_27
; %bb.31:                               ;   in Loop: Header=BB1_28 Depth=1
	v_mul_f32_e64 v0, |v3|, s29
	v_rndne_f32_e32 v15, v0
	v_cvt_i32_f32_e32 v0, v15
	v_fma_f32 v14, v15, s30, |v3|
	v_fmac_f32_e32 v14, 0xb3a22168, v15
	v_fmac_f32_e32 v14, 0xa7c234c4, v15
	s_branch .LBB1_27
.LBB1_32:
	s_mov_b32 s0, 0x43020000
	v_cmp_gt_f32_e32 vcc, s0, v10
	s_and_b64 exec, exec, vcc
	s_cbranch_execz .LBB1_153
; %bb.33:
	scratch_load_dword v1, off, off
	s_mov_b64 s[0:1], exec
	v_bfrev_b32_e32 v0, 1
.LBB1_34:                               ; =>This Inner Loop Header: Depth=1
	s_ff1_i32_b64 s2, s[0:1]
	s_waitcnt vmcnt(0)
	v_readlane_b32 s4, v1, s2
	s_lshl_b64 s[2:3], 1, s2
	s_andn2_b64 s[0:1], s[0:1], s[2:3]
	s_cmp_lg_u64 s[0:1], 0
	v_add_f32_e32 v0, s4, v0
	s_cbranch_scc1 .LBB1_34
; %bb.35:
	v_mbcnt_lo_u32_b32 v1, exec_lo, 0
	v_mbcnt_hi_u32_b32 v1, exec_hi, v1
	v_cmp_eq_u32_e32 vcc, 0, v1
	s_and_saveexec_b64 s[0:1], vcc
	s_xor_b64 s[0:1], exec, s[0:1]
	s_cbranch_execz .LBB1_37
; %bb.36:
	v_mov_b32_e32 v1, 0
	s_waitcnt lgkmcnt(0)
	global_atomic_add_f32 v1, v0, s[10:11]
.LBB1_37:
	s_or_b64 exec, exec, s[0:1]
	scratch_load_dword v1, off, off offset:4
	s_mov_b64 s[0:1], exec
	v_bfrev_b32_e32 v0, 1
.LBB1_38:                               ; =>This Inner Loop Header: Depth=1
	s_ff1_i32_b64 s2, s[0:1]
	s_waitcnt vmcnt(0)
	v_readlane_b32 s4, v1, s2
	s_lshl_b64 s[2:3], 1, s2
	s_andn2_b64 s[0:1], s[0:1], s[2:3]
	s_cmp_lg_u64 s[0:1], 0
	v_add_f32_e32 v0, s4, v0
	s_cbranch_scc1 .LBB1_38
; %bb.39:
	v_mbcnt_lo_u32_b32 v1, exec_lo, 0
	v_mbcnt_hi_u32_b32 v1, exec_hi, v1
	v_cmp_eq_u32_e32 vcc, 0, v1
	s_and_saveexec_b64 s[0:1], vcc
	s_xor_b64 s[0:1], exec, s[0:1]
	s_cbranch_execz .LBB1_41
; %bb.40:
	v_mov_b32_e32 v1, 0
	s_waitcnt lgkmcnt(0)
	global_atomic_add_f32 v1, v0, s[10:11] offset:4
.LBB1_41:
	s_or_b64 exec, exec, s[0:1]
	scratch_load_dword v1, off, off offset:8
	s_mov_b64 s[0:1], exec
	v_bfrev_b32_e32 v0, 1
.LBB1_42:                               ; =>This Inner Loop Header: Depth=1
	s_ff1_i32_b64 s2, s[0:1]
	s_waitcnt vmcnt(0)
	v_readlane_b32 s4, v1, s2
	s_lshl_b64 s[2:3], 1, s2
	s_andn2_b64 s[0:1], s[0:1], s[2:3]
	s_cmp_lg_u64 s[0:1], 0
	v_add_f32_e32 v0, s4, v0
	s_cbranch_scc1 .LBB1_42
; %bb.43:
	v_mbcnt_lo_u32_b32 v1, exec_lo, 0
	v_mbcnt_hi_u32_b32 v1, exec_hi, v1
	v_cmp_eq_u32_e32 vcc, 0, v1
	s_and_saveexec_b64 s[0:1], vcc
	s_xor_b64 s[0:1], exec, s[0:1]
	s_cbranch_execz .LBB1_45
; %bb.44:
	v_mov_b32_e32 v1, 0
	s_waitcnt lgkmcnt(0)
	global_atomic_add_f32 v1, v0, s[10:11] offset:8
.LBB1_45:
	s_or_b64 exec, exec, s[0:1]
	scratch_load_dword v1, off, off offset:12
	s_mov_b64 s[0:1], exec
	v_bfrev_b32_e32 v0, 1
.LBB1_46:                               ; =>This Inner Loop Header: Depth=1
	s_ff1_i32_b64 s2, s[0:1]
	s_waitcnt vmcnt(0)
	v_readlane_b32 s4, v1, s2
	s_lshl_b64 s[2:3], 1, s2
	s_andn2_b64 s[0:1], s[0:1], s[2:3]
	s_cmp_lg_u64 s[0:1], 0
	v_add_f32_e32 v0, s4, v0
	s_cbranch_scc1 .LBB1_46
; %bb.47:
	v_mbcnt_lo_u32_b32 v1, exec_lo, 0
	v_mbcnt_hi_u32_b32 v1, exec_hi, v1
	v_cmp_eq_u32_e32 vcc, 0, v1
	s_and_saveexec_b64 s[0:1], vcc
	s_xor_b64 s[0:1], exec, s[0:1]
	s_cbranch_execz .LBB1_49
; %bb.48:
	v_mov_b32_e32 v1, 0
	s_waitcnt lgkmcnt(0)
	global_atomic_add_f32 v1, v0, s[10:11] offset:12
.LBB1_49:
	s_or_b64 exec, exec, s[0:1]
	scratch_load_dword v1, off, off offset:16
	s_mov_b64 s[0:1], exec
	v_bfrev_b32_e32 v0, 1
.LBB1_50:                               ; =>This Inner Loop Header: Depth=1
	s_ff1_i32_b64 s2, s[0:1]
	s_waitcnt vmcnt(0)
	v_readlane_b32 s4, v1, s2
	s_lshl_b64 s[2:3], 1, s2
	s_andn2_b64 s[0:1], s[0:1], s[2:3]
	s_cmp_lg_u64 s[0:1], 0
	v_add_f32_e32 v0, s4, v0
	s_cbranch_scc1 .LBB1_50
; %bb.51:
	v_mbcnt_lo_u32_b32 v1, exec_lo, 0
	v_mbcnt_hi_u32_b32 v1, exec_hi, v1
	v_cmp_eq_u32_e32 vcc, 0, v1
	s_and_saveexec_b64 s[0:1], vcc
	s_xor_b64 s[0:1], exec, s[0:1]
	s_cbranch_execz .LBB1_53
; %bb.52:
	v_mov_b32_e32 v1, 0
	s_waitcnt lgkmcnt(0)
	global_atomic_add_f32 v1, v0, s[10:11] offset:16
.LBB1_53:
	s_or_b64 exec, exec, s[0:1]
	scratch_load_dword v1, off, off offset:20
	s_mov_b64 s[0:1], exec
	v_bfrev_b32_e32 v0, 1
.LBB1_54:                               ; =>This Inner Loop Header: Depth=1
	s_ff1_i32_b64 s2, s[0:1]
	s_waitcnt vmcnt(0)
	v_readlane_b32 s4, v1, s2
	s_lshl_b64 s[2:3], 1, s2
	s_andn2_b64 s[0:1], s[0:1], s[2:3]
	s_cmp_lg_u64 s[0:1], 0
	v_add_f32_e32 v0, s4, v0
	s_cbranch_scc1 .LBB1_54
; %bb.55:
	v_mbcnt_lo_u32_b32 v1, exec_lo, 0
	v_mbcnt_hi_u32_b32 v1, exec_hi, v1
	v_cmp_eq_u32_e32 vcc, 0, v1
	s_and_saveexec_b64 s[0:1], vcc
	s_xor_b64 s[0:1], exec, s[0:1]
	s_cbranch_execz .LBB1_57
; %bb.56:
	v_mov_b32_e32 v1, 0
	s_waitcnt lgkmcnt(0)
	global_atomic_add_f32 v1, v0, s[10:11] offset:20
.LBB1_57:
	s_or_b64 exec, exec, s[0:1]
	scratch_load_dword v1, off, off offset:24
	s_mov_b64 s[0:1], exec
	v_bfrev_b32_e32 v0, 1
.LBB1_58:                               ; =>This Inner Loop Header: Depth=1
	s_ff1_i32_b64 s2, s[0:1]
	s_waitcnt vmcnt(0)
	v_readlane_b32 s4, v1, s2
	s_lshl_b64 s[2:3], 1, s2
	s_andn2_b64 s[0:1], s[0:1], s[2:3]
	s_cmp_lg_u64 s[0:1], 0
	v_add_f32_e32 v0, s4, v0
	s_cbranch_scc1 .LBB1_58
; %bb.59:
	v_mbcnt_lo_u32_b32 v1, exec_lo, 0
	v_mbcnt_hi_u32_b32 v1, exec_hi, v1
	v_cmp_eq_u32_e32 vcc, 0, v1
	s_and_saveexec_b64 s[0:1], vcc
	s_xor_b64 s[0:1], exec, s[0:1]
	s_cbranch_execz .LBB1_61
; %bb.60:
	v_mov_b32_e32 v1, 0
	s_waitcnt lgkmcnt(0)
	global_atomic_add_f32 v1, v0, s[10:11] offset:24
.LBB1_61:
	s_or_b64 exec, exec, s[0:1]
	scratch_load_dword v1, off, off offset:28
	s_mov_b64 s[0:1], exec
	v_bfrev_b32_e32 v0, 1
.LBB1_62:                               ; =>This Inner Loop Header: Depth=1
	s_ff1_i32_b64 s2, s[0:1]
	s_waitcnt vmcnt(0)
	v_readlane_b32 s4, v1, s2
	s_lshl_b64 s[2:3], 1, s2
	s_andn2_b64 s[0:1], s[0:1], s[2:3]
	s_cmp_lg_u64 s[0:1], 0
	v_add_f32_e32 v0, s4, v0
	s_cbranch_scc1 .LBB1_62
; %bb.63:
	v_mbcnt_lo_u32_b32 v1, exec_lo, 0
	v_mbcnt_hi_u32_b32 v1, exec_hi, v1
	v_cmp_eq_u32_e32 vcc, 0, v1
	s_and_saveexec_b64 s[0:1], vcc
	s_xor_b64 s[0:1], exec, s[0:1]
	s_cbranch_execz .LBB1_65
; %bb.64:
	v_mov_b32_e32 v1, 0
	s_waitcnt lgkmcnt(0)
	global_atomic_add_f32 v1, v0, s[10:11] offset:28
.LBB1_65:
	s_or_b64 exec, exec, s[0:1]
	scratch_load_dword v1, off, off offset:32
	s_mov_b64 s[0:1], exec
	v_bfrev_b32_e32 v0, 1
.LBB1_66:                               ; =>This Inner Loop Header: Depth=1
	s_ff1_i32_b64 s2, s[0:1]
	s_waitcnt vmcnt(0)
	v_readlane_b32 s4, v1, s2
	s_lshl_b64 s[2:3], 1, s2
	s_andn2_b64 s[0:1], s[0:1], s[2:3]
	s_cmp_lg_u64 s[0:1], 0
	v_add_f32_e32 v0, s4, v0
	s_cbranch_scc1 .LBB1_66
; %bb.67:
	v_mbcnt_lo_u32_b32 v1, exec_lo, 0
	v_mbcnt_hi_u32_b32 v1, exec_hi, v1
	v_cmp_eq_u32_e32 vcc, 0, v1
	s_and_saveexec_b64 s[0:1], vcc
	s_xor_b64 s[0:1], exec, s[0:1]
	s_cbranch_execz .LBB1_69
; %bb.68:
	v_mov_b32_e32 v1, 0
	s_waitcnt lgkmcnt(0)
	global_atomic_add_f32 v1, v0, s[10:11] offset:32
.LBB1_69:
	s_or_b64 exec, exec, s[0:1]
	scratch_load_dword v1, off, off offset:36
	s_mov_b64 s[0:1], exec
	v_bfrev_b32_e32 v0, 1
.LBB1_70:                               ; =>This Inner Loop Header: Depth=1
	s_ff1_i32_b64 s2, s[0:1]
	s_waitcnt vmcnt(0)
	v_readlane_b32 s4, v1, s2
	s_lshl_b64 s[2:3], 1, s2
	s_andn2_b64 s[0:1], s[0:1], s[2:3]
	s_cmp_lg_u64 s[0:1], 0
	v_add_f32_e32 v0, s4, v0
	s_cbranch_scc1 .LBB1_70
; %bb.71:
	v_mbcnt_lo_u32_b32 v1, exec_lo, 0
	v_mbcnt_hi_u32_b32 v1, exec_hi, v1
	v_cmp_eq_u32_e32 vcc, 0, v1
	s_and_saveexec_b64 s[0:1], vcc
	s_xor_b64 s[0:1], exec, s[0:1]
	s_cbranch_execz .LBB1_73
; %bb.72:
	v_mov_b32_e32 v1, 0
	s_waitcnt lgkmcnt(0)
	global_atomic_add_f32 v1, v0, s[10:11] offset:36
.LBB1_73:
	s_or_b64 exec, exec, s[0:1]
	scratch_load_dword v1, off, off offset:40
	s_mov_b64 s[0:1], exec
	v_bfrev_b32_e32 v0, 1
.LBB1_74:                               ; =>This Inner Loop Header: Depth=1
	s_ff1_i32_b64 s2, s[0:1]
	s_waitcnt vmcnt(0)
	v_readlane_b32 s4, v1, s2
	s_lshl_b64 s[2:3], 1, s2
	s_andn2_b64 s[0:1], s[0:1], s[2:3]
	s_cmp_lg_u64 s[0:1], 0
	v_add_f32_e32 v0, s4, v0
	s_cbranch_scc1 .LBB1_74
; %bb.75:
	v_mbcnt_lo_u32_b32 v1, exec_lo, 0
	v_mbcnt_hi_u32_b32 v1, exec_hi, v1
	v_cmp_eq_u32_e32 vcc, 0, v1
	s_and_saveexec_b64 s[0:1], vcc
	s_xor_b64 s[0:1], exec, s[0:1]
	s_cbranch_execz .LBB1_77
; %bb.76:
	v_mov_b32_e32 v1, 0
	s_waitcnt lgkmcnt(0)
	global_atomic_add_f32 v1, v0, s[10:11] offset:40
.LBB1_77:
	s_or_b64 exec, exec, s[0:1]
	scratch_load_dword v1, off, off offset:44
	s_mov_b64 s[0:1], exec
	v_bfrev_b32_e32 v0, 1
.LBB1_78:                               ; =>This Inner Loop Header: Depth=1
	s_ff1_i32_b64 s2, s[0:1]
	s_waitcnt vmcnt(0)
	v_readlane_b32 s4, v1, s2
	s_lshl_b64 s[2:3], 1, s2
	s_andn2_b64 s[0:1], s[0:1], s[2:3]
	s_cmp_lg_u64 s[0:1], 0
	v_add_f32_e32 v0, s4, v0
	s_cbranch_scc1 .LBB1_78
; %bb.79:
	v_mbcnt_lo_u32_b32 v1, exec_lo, 0
	v_mbcnt_hi_u32_b32 v1, exec_hi, v1
	v_cmp_eq_u32_e32 vcc, 0, v1
	s_and_saveexec_b64 s[0:1], vcc
	s_xor_b64 s[0:1], exec, s[0:1]
	s_cbranch_execz .LBB1_81
; %bb.80:
	v_mov_b32_e32 v1, 0
	s_waitcnt lgkmcnt(0)
	global_atomic_add_f32 v1, v0, s[10:11] offset:44
.LBB1_81:
	s_or_b64 exec, exec, s[0:1]
	scratch_load_dword v1, off, off offset:48
	s_mov_b64 s[0:1], exec
	v_bfrev_b32_e32 v0, 1
.LBB1_82:                               ; =>This Inner Loop Header: Depth=1
	s_ff1_i32_b64 s2, s[0:1]
	s_waitcnt vmcnt(0)
	v_readlane_b32 s4, v1, s2
	s_lshl_b64 s[2:3], 1, s2
	s_andn2_b64 s[0:1], s[0:1], s[2:3]
	s_cmp_lg_u64 s[0:1], 0
	v_add_f32_e32 v0, s4, v0
	s_cbranch_scc1 .LBB1_82
; %bb.83:
	v_mbcnt_lo_u32_b32 v1, exec_lo, 0
	v_mbcnt_hi_u32_b32 v1, exec_hi, v1
	v_cmp_eq_u32_e32 vcc, 0, v1
	s_and_saveexec_b64 s[0:1], vcc
	s_xor_b64 s[0:1], exec, s[0:1]
	s_cbranch_execz .LBB1_85
; %bb.84:
	v_mov_b32_e32 v1, 0
	s_waitcnt lgkmcnt(0)
	global_atomic_add_f32 v1, v0, s[10:11] offset:48
.LBB1_85:
	s_or_b64 exec, exec, s[0:1]
	scratch_load_dword v1, off, off offset:52
	s_mov_b64 s[0:1], exec
	v_bfrev_b32_e32 v0, 1
.LBB1_86:                               ; =>This Inner Loop Header: Depth=1
	s_ff1_i32_b64 s2, s[0:1]
	s_waitcnt vmcnt(0)
	v_readlane_b32 s4, v1, s2
	s_lshl_b64 s[2:3], 1, s2
	s_andn2_b64 s[0:1], s[0:1], s[2:3]
	s_cmp_lg_u64 s[0:1], 0
	v_add_f32_e32 v0, s4, v0
	s_cbranch_scc1 .LBB1_86
; %bb.87:
	v_mbcnt_lo_u32_b32 v1, exec_lo, 0
	v_mbcnt_hi_u32_b32 v1, exec_hi, v1
	v_cmp_eq_u32_e32 vcc, 0, v1
	s_and_saveexec_b64 s[0:1], vcc
	s_xor_b64 s[0:1], exec, s[0:1]
	s_cbranch_execz .LBB1_89
; %bb.88:
	v_mov_b32_e32 v1, 0
	s_waitcnt lgkmcnt(0)
	global_atomic_add_f32 v1, v0, s[10:11] offset:52
.LBB1_89:
	s_or_b64 exec, exec, s[0:1]
	scratch_load_dword v1, off, off offset:56
	s_mov_b64 s[0:1], exec
	v_bfrev_b32_e32 v0, 1
.LBB1_90:                               ; =>This Inner Loop Header: Depth=1
	s_ff1_i32_b64 s2, s[0:1]
	s_waitcnt vmcnt(0)
	v_readlane_b32 s4, v1, s2
	s_lshl_b64 s[2:3], 1, s2
	s_andn2_b64 s[0:1], s[0:1], s[2:3]
	s_cmp_lg_u64 s[0:1], 0
	v_add_f32_e32 v0, s4, v0
	s_cbranch_scc1 .LBB1_90
; %bb.91:
	v_mbcnt_lo_u32_b32 v1, exec_lo, 0
	v_mbcnt_hi_u32_b32 v1, exec_hi, v1
	v_cmp_eq_u32_e32 vcc, 0, v1
	s_and_saveexec_b64 s[0:1], vcc
	s_xor_b64 s[0:1], exec, s[0:1]
	s_cbranch_execz .LBB1_93
; %bb.92:
	v_mov_b32_e32 v1, 0
	s_waitcnt lgkmcnt(0)
	global_atomic_add_f32 v1, v0, s[10:11] offset:56
.LBB1_93:
	s_or_b64 exec, exec, s[0:1]
	scratch_load_dword v1, off, off offset:60
	s_mov_b64 s[0:1], exec
	v_bfrev_b32_e32 v0, 1
.LBB1_94:                               ; =>This Inner Loop Header: Depth=1
	s_ff1_i32_b64 s2, s[0:1]
	s_waitcnt vmcnt(0)
	v_readlane_b32 s4, v1, s2
	s_lshl_b64 s[2:3], 1, s2
	s_andn2_b64 s[0:1], s[0:1], s[2:3]
	s_cmp_lg_u64 s[0:1], 0
	v_add_f32_e32 v0, s4, v0
	s_cbranch_scc1 .LBB1_94
; %bb.95:
	v_mbcnt_lo_u32_b32 v1, exec_lo, 0
	v_mbcnt_hi_u32_b32 v1, exec_hi, v1
	v_cmp_eq_u32_e32 vcc, 0, v1
	s_and_saveexec_b64 s[0:1], vcc
	s_xor_b64 s[0:1], exec, s[0:1]
	s_cbranch_execz .LBB1_97
; %bb.96:
	v_mov_b32_e32 v1, 0
	s_waitcnt lgkmcnt(0)
	global_atomic_add_f32 v1, v0, s[10:11] offset:60
.LBB1_97:
	s_or_b64 exec, exec, s[0:1]
	scratch_load_dword v1, off, off offset:64
	s_mov_b64 s[0:1], exec
	v_bfrev_b32_e32 v0, 1
.LBB1_98:                               ; =>This Inner Loop Header: Depth=1
	s_ff1_i32_b64 s2, s[0:1]
	s_waitcnt vmcnt(0)
	v_readlane_b32 s4, v1, s2
	s_lshl_b64 s[2:3], 1, s2
	s_andn2_b64 s[0:1], s[0:1], s[2:3]
	s_cmp_lg_u64 s[0:1], 0
	v_add_f32_e32 v0, s4, v0
	s_cbranch_scc1 .LBB1_98
; %bb.99:
	v_mbcnt_lo_u32_b32 v1, exec_lo, 0
	v_mbcnt_hi_u32_b32 v1, exec_hi, v1
	v_cmp_eq_u32_e32 vcc, 0, v1
	s_and_saveexec_b64 s[0:1], vcc
	s_xor_b64 s[0:1], exec, s[0:1]
	s_cbranch_execz .LBB1_101
; %bb.100:
	v_mov_b32_e32 v1, 0
	s_waitcnt lgkmcnt(0)
	global_atomic_add_f32 v1, v0, s[10:11] offset:64
.LBB1_101:
	s_or_b64 exec, exec, s[0:1]
	scratch_load_dword v1, off, off offset:68
	s_mov_b64 s[0:1], exec
	v_bfrev_b32_e32 v0, 1
.LBB1_102:                              ; =>This Inner Loop Header: Depth=1
	s_ff1_i32_b64 s2, s[0:1]
	s_waitcnt vmcnt(0)
	v_readlane_b32 s4, v1, s2
	s_lshl_b64 s[2:3], 1, s2
	s_andn2_b64 s[0:1], s[0:1], s[2:3]
	s_cmp_lg_u64 s[0:1], 0
	v_add_f32_e32 v0, s4, v0
	s_cbranch_scc1 .LBB1_102
; %bb.103:
	v_mbcnt_lo_u32_b32 v1, exec_lo, 0
	v_mbcnt_hi_u32_b32 v1, exec_hi, v1
	v_cmp_eq_u32_e32 vcc, 0, v1
	s_and_saveexec_b64 s[0:1], vcc
	s_xor_b64 s[0:1], exec, s[0:1]
	s_cbranch_execz .LBB1_105
; %bb.104:
	v_mov_b32_e32 v1, 0
	s_waitcnt lgkmcnt(0)
	global_atomic_add_f32 v1, v0, s[10:11] offset:68
.LBB1_105:
	s_or_b64 exec, exec, s[0:1]
	scratch_load_dword v1, off, off offset:72
	s_mov_b64 s[0:1], exec
	v_bfrev_b32_e32 v0, 1
.LBB1_106:                              ; =>This Inner Loop Header: Depth=1
	s_ff1_i32_b64 s2, s[0:1]
	s_waitcnt vmcnt(0)
	v_readlane_b32 s4, v1, s2
	s_lshl_b64 s[2:3], 1, s2
	s_andn2_b64 s[0:1], s[0:1], s[2:3]
	s_cmp_lg_u64 s[0:1], 0
	v_add_f32_e32 v0, s4, v0
	s_cbranch_scc1 .LBB1_106
; %bb.107:
	v_mbcnt_lo_u32_b32 v1, exec_lo, 0
	v_mbcnt_hi_u32_b32 v1, exec_hi, v1
	v_cmp_eq_u32_e32 vcc, 0, v1
	s_and_saveexec_b64 s[0:1], vcc
	s_xor_b64 s[0:1], exec, s[0:1]
	s_cbranch_execz .LBB1_109
; %bb.108:
	v_mov_b32_e32 v1, 0
	s_waitcnt lgkmcnt(0)
	global_atomic_add_f32 v1, v0, s[10:11] offset:72
.LBB1_109:
	s_or_b64 exec, exec, s[0:1]
	scratch_load_dword v1, off, off offset:76
	s_mov_b64 s[0:1], exec
	v_bfrev_b32_e32 v0, 1
.LBB1_110:                              ; =>This Inner Loop Header: Depth=1
	s_ff1_i32_b64 s2, s[0:1]
	s_waitcnt vmcnt(0)
	v_readlane_b32 s4, v1, s2
	s_lshl_b64 s[2:3], 1, s2
	s_andn2_b64 s[0:1], s[0:1], s[2:3]
	s_cmp_lg_u64 s[0:1], 0
	v_add_f32_e32 v0, s4, v0
	s_cbranch_scc1 .LBB1_110
; %bb.111:
	v_mbcnt_lo_u32_b32 v1, exec_lo, 0
	v_mbcnt_hi_u32_b32 v1, exec_hi, v1
	v_cmp_eq_u32_e32 vcc, 0, v1
	s_and_saveexec_b64 s[0:1], vcc
	s_xor_b64 s[0:1], exec, s[0:1]
	s_cbranch_execz .LBB1_113
; %bb.112:
	v_mov_b32_e32 v1, 0
	s_waitcnt lgkmcnt(0)
	global_atomic_add_f32 v1, v0, s[10:11] offset:76
.LBB1_113:
	s_or_b64 exec, exec, s[0:1]
	scratch_load_dword v1, off, off offset:80
	s_mov_b64 s[0:1], exec
	v_bfrev_b32_e32 v0, 1
.LBB1_114:                              ; =>This Inner Loop Header: Depth=1
	s_ff1_i32_b64 s2, s[0:1]
	s_waitcnt vmcnt(0)
	v_readlane_b32 s4, v1, s2
	s_lshl_b64 s[2:3], 1, s2
	s_andn2_b64 s[0:1], s[0:1], s[2:3]
	s_cmp_lg_u64 s[0:1], 0
	v_add_f32_e32 v0, s4, v0
	s_cbranch_scc1 .LBB1_114
; %bb.115:
	v_mbcnt_lo_u32_b32 v1, exec_lo, 0
	v_mbcnt_hi_u32_b32 v1, exec_hi, v1
	v_cmp_eq_u32_e32 vcc, 0, v1
	s_and_saveexec_b64 s[0:1], vcc
	s_xor_b64 s[0:1], exec, s[0:1]
	s_cbranch_execz .LBB1_117
; %bb.116:
	v_mov_b32_e32 v1, 0
	s_waitcnt lgkmcnt(0)
	global_atomic_add_f32 v1, v0, s[10:11] offset:80
.LBB1_117:
	;; [unrolled: 50-line block ×6, first 2 shown]
	s_or_b64 exec, exec, s[0:1]
	scratch_load_dword v1, off, off offset:116
	s_mov_b64 s[0:1], exec
	v_bfrev_b32_e32 v0, 1
.LBB1_150:                              ; =>This Inner Loop Header: Depth=1
	s_ff1_i32_b64 s2, s[0:1]
	s_waitcnt vmcnt(0)
	v_readlane_b32 s4, v1, s2
	s_lshl_b64 s[2:3], 1, s2
	s_andn2_b64 s[0:1], s[0:1], s[2:3]
	s_cmp_lg_u64 s[0:1], 0
	v_add_f32_e32 v0, s4, v0
	s_cbranch_scc1 .LBB1_150
; %bb.151:
	v_mbcnt_lo_u32_b32 v1, exec_lo, 0
	v_mbcnt_hi_u32_b32 v1, exec_hi, v1
	v_cmp_eq_u32_e32 vcc, 0, v1
	s_and_saveexec_b64 s[0:1], vcc
	s_xor_b64 s[0:1], exec, s[0:1]
	s_cbranch_execz .LBB1_153
; %bb.152:
	v_mov_b32_e32 v1, 0
	s_waitcnt lgkmcnt(0)
	global_atomic_add_f32 v1, v0, s[10:11] offset:116
.LBB1_153:
	s_endpgm
	.section	.rodata,"a",@progbits
	.p2align	6, 0x0
	.amdhsa_kernel _Z17kernelUpdatePBestPKfPfS1_i
		.amdhsa_group_segment_fixed_size 0
		.amdhsa_private_segment_fixed_size 256
		.amdhsa_kernarg_size 288
		.amdhsa_user_sgpr_count 2
		.amdhsa_user_sgpr_dispatch_ptr 0
		.amdhsa_user_sgpr_queue_ptr 0
		.amdhsa_user_sgpr_kernarg_segment_ptr 1
		.amdhsa_user_sgpr_dispatch_id 0
		.amdhsa_user_sgpr_kernarg_preload_length 0
		.amdhsa_user_sgpr_kernarg_preload_offset 0
		.amdhsa_user_sgpr_private_segment_size 0
		.amdhsa_uses_dynamic_stack 0
		.amdhsa_enable_private_segment 1
		.amdhsa_system_sgpr_workgroup_id_x 1
		.amdhsa_system_sgpr_workgroup_id_y 0
		.amdhsa_system_sgpr_workgroup_id_z 0
		.amdhsa_system_sgpr_workgroup_info 0
		.amdhsa_system_vgpr_workitem_id 0
		.amdhsa_next_free_vgpr 62
		.amdhsa_next_free_sgpr 38
		.amdhsa_accum_offset 64
		.amdhsa_reserve_vcc 1
		.amdhsa_float_round_mode_32 0
		.amdhsa_float_round_mode_16_64 0
		.amdhsa_float_denorm_mode_32 3
		.amdhsa_float_denorm_mode_16_64 3
		.amdhsa_dx10_clamp 1
		.amdhsa_ieee_mode 1
		.amdhsa_fp16_overflow 0
		.amdhsa_tg_split 0
		.amdhsa_exception_fp_ieee_invalid_op 0
		.amdhsa_exception_fp_denorm_src 0
		.amdhsa_exception_fp_ieee_div_zero 0
		.amdhsa_exception_fp_ieee_overflow 0
		.amdhsa_exception_fp_ieee_underflow 0
		.amdhsa_exception_fp_ieee_inexact 0
		.amdhsa_exception_int_div_zero 0
	.end_amdhsa_kernel
	.text
.Lfunc_end1:
	.size	_Z17kernelUpdatePBestPKfPfS1_i, .Lfunc_end1-_Z17kernelUpdatePBestPKfPfS1_i
                                        ; -- End function
	.section	.AMDGPU.csdata,"",@progbits
; Kernel info:
; codeLenInByte = 20244
; NumSgprs: 44
; NumVgprs: 62
; NumAgprs: 0
; TotalNumVgprs: 62
; ScratchSize: 256
; MemoryBound: 0
; FloatMode: 240
; IeeeMode: 1
; LDSByteSize: 0 bytes/workgroup (compile time only)
; SGPRBlocks: 5
; VGPRBlocks: 7
; NumSGPRsForWavesPerEU: 44
; NumVGPRsForWavesPerEU: 62
; AccumOffset: 64
; Occupancy: 8
; WaveLimiterHint : 0
; COMPUTE_PGM_RSRC2:SCRATCH_EN: 1
; COMPUTE_PGM_RSRC2:USER_SGPR: 2
; COMPUTE_PGM_RSRC2:TRAP_HANDLER: 0
; COMPUTE_PGM_RSRC2:TGID_X_EN: 1
; COMPUTE_PGM_RSRC2:TGID_Y_EN: 0
; COMPUTE_PGM_RSRC2:TGID_Z_EN: 0
; COMPUTE_PGM_RSRC2:TIDIG_COMP_CNT: 0
; COMPUTE_PGM_RSRC3_GFX90A:ACCUM_OFFSET: 15
; COMPUTE_PGM_RSRC3_GFX90A:TG_SPLIT: 0
	.text
	.p2alignl 6, 3212836864
	.fill 256, 4, 3212836864
	.type	__hip_cuid_38748dd7cebcc273,@object ; @__hip_cuid_38748dd7cebcc273
	.section	.bss,"aw",@nobits
	.globl	__hip_cuid_38748dd7cebcc273
__hip_cuid_38748dd7cebcc273:
	.byte	0                               ; 0x0
	.size	__hip_cuid_38748dd7cebcc273, 1

	.ident	"AMD clang version 19.0.0git (https://github.com/RadeonOpenCompute/llvm-project roc-6.4.0 25133 c7fe45cf4b819c5991fe208aaa96edf142730f1d)"
	.section	".note.GNU-stack","",@progbits
	.addrsig
	.addrsig_sym __hip_cuid_38748dd7cebcc273
	.amdgpu_metadata
---
amdhsa.kernels:
  - .agpr_count:     0
    .args:
      - .address_space:  global
        .offset:         0
        .size:           8
        .value_kind:     global_buffer
      - .address_space:  global
        .offset:         8
        .size:           8
        .value_kind:     global_buffer
      - .actual_access:  read_only
        .address_space:  global
        .offset:         16
        .size:           8
        .value_kind:     global_buffer
      - .actual_access:  read_only
        .address_space:  global
        .offset:         24
        .size:           8
        .value_kind:     global_buffer
      - .offset:         32
        .size:           4
        .value_kind:     by_value
      - .offset:         36
        .size:           4
        .value_kind:     by_value
      - .offset:         40
        .size:           4
        .value_kind:     by_value
      - .offset:         48
        .size:           4
        .value_kind:     hidden_block_count_x
      - .offset:         52
        .size:           4
        .value_kind:     hidden_block_count_y
      - .offset:         56
        .size:           4
        .value_kind:     hidden_block_count_z
      - .offset:         60
        .size:           2
        .value_kind:     hidden_group_size_x
      - .offset:         62
        .size:           2
        .value_kind:     hidden_group_size_y
      - .offset:         64
        .size:           2
        .value_kind:     hidden_group_size_z
      - .offset:         66
        .size:           2
        .value_kind:     hidden_remainder_x
      - .offset:         68
        .size:           2
        .value_kind:     hidden_remainder_y
      - .offset:         70
        .size:           2
        .value_kind:     hidden_remainder_z
      - .offset:         88
        .size:           8
        .value_kind:     hidden_global_offset_x
      - .offset:         96
        .size:           8
        .value_kind:     hidden_global_offset_y
      - .offset:         104
        .size:           8
        .value_kind:     hidden_global_offset_z
      - .offset:         112
        .size:           2
        .value_kind:     hidden_grid_dims
    .group_segment_fixed_size: 0
    .kernarg_segment_align: 8
    .kernarg_segment_size: 304
    .language:       OpenCL C
    .language_version:
      - 2
      - 0
    .max_flat_workgroup_size: 1024
    .name:           _Z20kernelUpdateParticlePfS_PKfS1_iff
    .private_segment_fixed_size: 0
    .sgpr_count:     22
    .sgpr_spill_count: 0
    .symbol:         _Z20kernelUpdateParticlePfS_PKfS1_iff.kd
    .uniform_work_group_size: 1
    .uses_dynamic_stack: false
    .vgpr_count:     12
    .vgpr_spill_count: 0
    .wavefront_size: 64
  - .agpr_count:     0
    .args:
      - .actual_access:  read_only
        .address_space:  global
        .offset:         0
        .size:           8
        .value_kind:     global_buffer
      - .address_space:  global
        .offset:         8
        .size:           8
        .value_kind:     global_buffer
      - .address_space:  global
        .offset:         16
        .size:           8
        .value_kind:     global_buffer
      - .offset:         24
        .size:           4
        .value_kind:     by_value
      - .offset:         32
        .size:           4
        .value_kind:     hidden_block_count_x
      - .offset:         36
        .size:           4
        .value_kind:     hidden_block_count_y
      - .offset:         40
        .size:           4
        .value_kind:     hidden_block_count_z
      - .offset:         44
        .size:           2
        .value_kind:     hidden_group_size_x
      - .offset:         46
        .size:           2
        .value_kind:     hidden_group_size_y
      - .offset:         48
        .size:           2
        .value_kind:     hidden_group_size_z
      - .offset:         50
        .size:           2
        .value_kind:     hidden_remainder_x
      - .offset:         52
        .size:           2
        .value_kind:     hidden_remainder_y
      - .offset:         54
        .size:           2
        .value_kind:     hidden_remainder_z
      - .offset:         72
        .size:           8
        .value_kind:     hidden_global_offset_x
      - .offset:         80
        .size:           8
        .value_kind:     hidden_global_offset_y
      - .offset:         88
        .size:           8
        .value_kind:     hidden_global_offset_z
      - .offset:         96
        .size:           2
        .value_kind:     hidden_grid_dims
    .group_segment_fixed_size: 0
    .kernarg_segment_align: 8
    .kernarg_segment_size: 288
    .language:       OpenCL C
    .language_version:
      - 2
      - 0
    .max_flat_workgroup_size: 1024
    .name:           _Z17kernelUpdatePBestPKfPfS1_i
    .private_segment_fixed_size: 256
    .sgpr_count:     44
    .sgpr_spill_count: 0
    .symbol:         _Z17kernelUpdatePBestPKfPfS1_i.kd
    .uniform_work_group_size: 1
    .uses_dynamic_stack: false
    .vgpr_count:     62
    .vgpr_spill_count: 0
    .wavefront_size: 64
amdhsa.target:   amdgcn-amd-amdhsa--gfx942
amdhsa.version:
  - 1
  - 2
...

	.end_amdgpu_metadata
